;; amdgpu-corpus repo=ROCm/rocFFT kind=compiled arch=gfx1030 opt=O3
	.text
	.amdgcn_target "amdgcn-amd-amdhsa--gfx1030"
	.amdhsa_code_object_version 6
	.protected	bluestein_single_fwd_len1326_dim1_dp_op_CI_CI ; -- Begin function bluestein_single_fwd_len1326_dim1_dp_op_CI_CI
	.globl	bluestein_single_fwd_len1326_dim1_dp_op_CI_CI
	.p2align	8
	.type	bluestein_single_fwd_len1326_dim1_dp_op_CI_CI,@function
bluestein_single_fwd_len1326_dim1_dp_op_CI_CI: ; @bluestein_single_fwd_len1326_dim1_dp_op_CI_CI
; %bb.0:
	v_mul_u32_u24_e32 v1, 0x283, v0
	s_mov_b64 s[62:63], s[2:3]
	s_mov_b64 s[60:61], s[0:1]
	s_load_dwordx4 s[0:3], s[4:5], 0x28
	s_add_u32 s60, s60, s7
	v_lshrrev_b32_e32 v1, 16, v1
	s_addc_u32 s61, s61, 0
	v_mov_b32_e32 v4, 0
	v_lshl_add_u32 v3, s6, 1, v1
	v_mov_b32_e32 v2, v3
	buffer_store_dword v2, off, s[60:63], 0 ; 4-byte Folded Spill
	buffer_store_dword v3, off, s[60:63], 0 offset:4 ; 4-byte Folded Spill
	s_waitcnt lgkmcnt(0)
	v_cmp_gt_u64_e32 vcc_lo, s[0:1], v[3:4]
	s_and_saveexec_b32 s0, vcc_lo
	s_cbranch_execz .LBB0_23
; %bb.1:
	v_mul_lo_u16 v2, 0x66, v1
	s_clause 0x1
	s_load_dwordx2 s[12:13], s[4:5], 0x0
	s_load_dwordx2 s[14:15], s[4:5], 0x38
	v_and_b32_e32 v1, 1, v1
	v_sub_nc_u16 v0, v0, v2
	v_cmp_eq_u32_e32 vcc_lo, 1, v1
	v_and_b32_e32 v255, 0xffff, v0
	v_cndmask_b32_e64 v206, 0, 0x52e, vcc_lo
	v_cmp_gt_u16_e32 vcc_lo, 0x4e, v0
	v_lshlrev_b32_e32 v0, 4, v206
	buffer_store_dword v0, off, s[60:63], 0 offset:8 ; 4-byte Folded Spill
	s_and_saveexec_b32 s1, vcc_lo
	s_cbranch_execz .LBB0_3
; %bb.2:
	s_load_dwordx2 s[6:7], s[4:5], 0x18
	v_lshlrev_b32_e32 v150, 4, v255
	s_waitcnt lgkmcnt(0)
	v_add_co_u32 v8, s0, s12, v150
	v_add_co_ci_u32_e64 v9, null, s13, 0, s0
	v_add_co_u32 v14, s0, 0x800, v8
	v_add_co_ci_u32_e64 v15, s0, 0, v9, s0
	v_add_co_u32 v18, s0, 0x1000, v8
	v_add_co_ci_u32_e64 v19, s0, 0, v9, s0
	v_add_co_u32 v26, s0, 0x1800, v8
	s_load_dwordx4 s[8:11], s[6:7], 0x0
	s_clause 0x1
	global_load_dwordx4 v[0:3], v150, s[12:13]
	global_load_dwordx4 v[4:7], v150, s[12:13] offset:1248
	s_clause 0x1
	buffer_load_dword v10, off, s[60:63], 0
	buffer_load_dword v11, off, s[60:63], 0 offset:4
	v_add_co_ci_u32_e64 v27, s0, 0, v9, s0
	v_add_co_u32 v34, s0, 0x2000, v8
	v_add_co_ci_u32_e64 v35, s0, 0, v9, s0
	v_add_co_u32 v38, s0, 0x2800, v8
	;; [unrolled: 2-line block ×4, first 2 shown]
	v_add_co_ci_u32_e64 v55, s0, 0, v9, s0
	s_waitcnt lgkmcnt(0)
	v_mad_u64_u32 v[22:23], null, s8, v255, 0
	v_add_co_u32 v118, s0, 0x4000, v8
	v_add_co_ci_u32_e64 v119, s0, 0, v9, s0
	s_mul_i32 s6, s9, 0x4e0
	s_mul_hi_u32 s7, s8, 0x4e0
	s_add_i32 s7, s7, s6
	s_waitcnt vmcnt(0)
	v_mov_b32_e32 v11, v10
	v_mad_u64_u32 v[20:21], null, s10, v11, 0
	v_mov_b32_e32 v10, v21
	v_mad_u64_u32 v[10:11], null, s11, v11, v[10:11]
	;; [unrolled: 2-line block ×3, first 2 shown]
	v_mov_b32_e32 v21, v10
	s_clause 0x1
	global_load_dwordx4 v[10:13], v[14:15], off offset:448
	global_load_dwordx4 v[14:17], v[14:15], off offset:1696
	v_lshlrev_b64 v[24:25], 4, v[20:21]
	v_lshlrev_b64 v[22:23], 4, v[22:23]
	global_load_dwordx4 v[18:21], v[18:19], off offset:896
	v_add_co_u32 v24, s0, s2, v24
	v_add_co_ci_u32_e64 v25, s0, s3, v25, s0
	s_mul_i32 s2, s8, 0x4e0
	v_add_co_u32 v58, s0, v24, v22
	v_add_co_ci_u32_e64 v59, s0, v25, v23, s0
	s_clause 0x1
	global_load_dwordx4 v[22:25], v[26:27], off offset:96
	global_load_dwordx4 v[26:29], v[26:27], off offset:1344
	v_add_co_u32 v62, s0, v58, s2
	v_add_co_ci_u32_e64 v63, s0, s7, v59, s0
	s_clause 0x1
	global_load_dwordx4 v[30:33], v[34:35], off offset:544
	global_load_dwordx4 v[34:37], v[34:35], off offset:1792
	v_add_co_u32 v66, s0, v62, s2
	v_add_co_ci_u32_e64 v67, s0, s7, v63, s0
	global_load_dwordx4 v[38:41], v[38:39], off offset:992
	v_add_co_u32 v70, s0, v66, s2
	v_add_co_ci_u32_e64 v71, s0, s7, v67, s0
	s_clause 0x1
	global_load_dwordx4 v[42:45], v[46:47], off offset:192
	global_load_dwordx4 v[46:49], v[46:47], off offset:1440
	v_add_co_u32 v74, s0, v70, s2
	v_add_co_ci_u32_e64 v75, s0, s7, v71, s0
	s_clause 0x1
	global_load_dwordx4 v[50:53], v[54:55], off offset:640
	global_load_dwordx4 v[54:57], v[54:55], off offset:1888
	v_add_co_u32 v78, s0, v74, s2
	v_add_co_ci_u32_e64 v79, s0, s7, v75, s0
	s_clause 0x1
	global_load_dwordx4 v[58:61], v[58:59], off
	global_load_dwordx4 v[62:65], v[62:63], off
	v_add_co_u32 v82, s0, v78, s2
	v_add_co_ci_u32_e64 v83, s0, s7, v79, s0
	global_load_dwordx4 v[66:69], v[66:67], off
	v_add_co_u32 v86, s0, v82, s2
	v_add_co_ci_u32_e64 v87, s0, s7, v83, s0
	s_clause 0x1
	global_load_dwordx4 v[70:73], v[70:71], off
	global_load_dwordx4 v[74:77], v[74:75], off
	v_add_co_u32 v90, s0, v86, s2
	v_add_co_ci_u32_e64 v91, s0, s7, v87, s0
	global_load_dwordx4 v[78:81], v[78:79], off
	v_add_co_u32 v94, s0, v90, s2
	v_add_co_ci_u32_e64 v95, s0, s7, v91, s0
	;; [unrolled: 3-line block ×6, first 2 shown]
	v_add_co_u32 v120, s0, v110, s2
	v_add_co_ci_u32_e64 v121, s0, s7, v111, s0
	global_load_dwordx4 v[98:101], v[98:99], off
	global_load_dwordx4 v[102:105], v[102:103], off
	;; [unrolled: 1-line block ×5, first 2 shown]
	v_add_co_u32 v122, s0, v120, s2
	v_add_co_ci_u32_e64 v123, s0, s7, v121, s0
	v_add_co_u32 v8, s0, 0x4800, v8
	v_add_co_ci_u32_e64 v9, s0, 0, v9, s0
	;; [unrolled: 2-line block ×3, first 2 shown]
	global_load_dwordx4 v[118:121], v[118:119], off offset:1088
	global_load_dwordx4 v[122:125], v[122:123], off
	s_clause 0x1
	global_load_dwordx4 v[126:129], v[8:9], off offset:288
	global_load_dwordx4 v[130:133], v[8:9], off offset:1536
	global_load_dwordx4 v[134:137], v[134:135], off
	s_waitcnt vmcnt(19)
	v_mul_f64 v[8:9], v[60:61], v[2:3]
	v_mul_f64 v[2:3], v[58:59], v[2:3]
	s_waitcnt vmcnt(18)
	v_mul_f64 v[138:139], v[64:65], v[6:7]
	v_mul_f64 v[140:141], v[62:63], v[6:7]
	;; [unrolled: 3-line block ×6, first 2 shown]
	v_fma_f64 v[6:7], v[58:59], v[0:1], v[8:9]
	v_fma_f64 v[8:9], v[60:61], v[0:1], -v[2:3]
	v_fma_f64 v[0:1], v[62:63], v[4:5], v[138:139]
	v_fma_f64 v[2:3], v[64:65], v[4:5], -v[140:141]
	s_waitcnt vmcnt(13)
	v_mul_f64 v[4:5], v[84:85], v[28:29]
	v_mul_f64 v[28:29], v[82:83], v[28:29]
	s_waitcnt vmcnt(12)
	v_mul_f64 v[62:63], v[88:89], v[32:33]
	v_mul_f64 v[32:33], v[86:87], v[32:33]
	v_fma_f64 v[58:59], v[66:67], v[10:11], v[142:143]
	s_waitcnt vmcnt(11)
	v_mul_f64 v[64:65], v[92:93], v[36:37]
	v_mul_f64 v[36:37], v[90:91], v[36:37]
	v_fma_f64 v[60:61], v[68:69], v[10:11], -v[12:13]
	v_fma_f64 v[10:11], v[70:71], v[14:15], v[144:145]
	v_fma_f64 v[12:13], v[72:73], v[14:15], -v[16:17]
	s_waitcnt vmcnt(10)
	v_mul_f64 v[66:67], v[96:97], v[40:41]
	v_mul_f64 v[40:41], v[94:95], v[40:41]
	v_fma_f64 v[14:15], v[74:75], v[18:19], v[146:147]
	v_fma_f64 v[16:17], v[76:77], v[18:19], -v[20:21]
	v_fma_f64 v[18:19], v[78:79], v[22:23], v[148:149]
	v_fma_f64 v[20:21], v[80:81], v[22:23], -v[24:25]
	s_waitcnt vmcnt(9)
	v_mul_f64 v[68:69], v[100:101], v[44:45]
	v_mul_f64 v[44:45], v[98:99], v[44:45]
	s_waitcnt vmcnt(8)
	v_mul_f64 v[70:71], v[104:105], v[48:49]
	v_mul_f64 v[48:49], v[102:103], v[48:49]
	s_waitcnt vmcnt(7)
	v_mul_f64 v[72:73], v[108:109], v[52:53]
	v_mul_f64 v[52:53], v[106:107], v[52:53]
	s_waitcnt vmcnt(6)
	v_mul_f64 v[74:75], v[112:113], v[56:57]
	v_mul_f64 v[56:57], v[110:111], v[56:57]
	v_fma_f64 v[22:23], v[82:83], v[26:27], v[4:5]
	v_fma_f64 v[24:25], v[84:85], v[26:27], -v[28:29]
	v_fma_f64 v[26:27], v[86:87], v[30:31], v[62:63]
	v_fma_f64 v[28:29], v[88:89], v[30:31], -v[32:33]
	v_fma_f64 v[30:31], v[90:91], v[34:35], v[64:65]
	s_waitcnt vmcnt(4)
	v_mul_f64 v[76:77], v[116:117], v[120:121]
	v_mul_f64 v[78:79], v[114:115], v[120:121]
	s_waitcnt vmcnt(2)
	v_mul_f64 v[80:81], v[124:125], v[128:129]
	v_mul_f64 v[120:121], v[122:123], v[128:129]
	;; [unrolled: 3-line block ×3, first 2 shown]
	v_fma_f64 v[32:33], v[92:93], v[34:35], -v[36:37]
	v_fma_f64 v[34:35], v[94:95], v[38:39], v[66:67]
	v_fma_f64 v[36:37], v[96:97], v[38:39], -v[40:41]
	v_fma_f64 v[38:39], v[98:99], v[42:43], v[68:69]
	;; [unrolled: 2-line block ×4, first 2 shown]
	v_fma_f64 v[48:49], v[108:109], v[50:51], -v[52:53]
	v_lshlrev_b32_e32 v5, 4, v206
	v_fma_f64 v[50:51], v[110:111], v[54:55], v[74:75]
	v_fma_f64 v[52:53], v[112:113], v[54:55], -v[56:57]
	v_lshl_add_u32 v4, v255, 4, v5
	v_add_nc_u32_e32 v5, v5, v150
	v_fma_f64 v[54:55], v[114:115], v[118:119], v[76:77]
	v_fma_f64 v[56:57], v[116:117], v[118:119], -v[78:79]
	v_fma_f64 v[62:63], v[122:123], v[126:127], v[80:81]
	v_fma_f64 v[64:65], v[124:125], v[126:127], -v[120:121]
	;; [unrolled: 2-line block ×3, first 2 shown]
	ds_write_b128 v4, v[6:9]
	ds_write_b128 v5, v[0:3] offset:1248
	ds_write_b128 v5, v[58:61] offset:2496
	;; [unrolled: 1-line block ×16, first 2 shown]
.LBB0_3:
	s_or_b32 exec_lo, exec_lo, s1
	s_waitcnt lgkmcnt(0)
	s_waitcnt_vscnt null, 0x0
	s_barrier
	buffer_gl0_inv
                                        ; implicit-def: $vgpr0_vgpr1
                                        ; implicit-def: $vgpr20_vgpr21
                                        ; implicit-def: $vgpr24_vgpr25
                                        ; implicit-def: $vgpr52_vgpr53
                                        ; implicit-def: $vgpr56_vgpr57
                                        ; implicit-def: $vgpr60_vgpr61
                                        ; implicit-def: $vgpr68_vgpr69
                                        ; implicit-def: $vgpr72_vgpr73
                                        ; implicit-def: $vgpr76_vgpr77
                                        ; implicit-def: $vgpr80_vgpr81
                                        ; implicit-def: $vgpr84_vgpr85
                                        ; implicit-def: $vgpr64_vgpr65
                                        ; implicit-def: $vgpr28_vgpr29
                                        ; implicit-def: $vgpr16_vgpr17
                                        ; implicit-def: $vgpr12_vgpr13
                                        ; implicit-def: $vgpr8_vgpr9
                                        ; implicit-def: $vgpr4_vgpr5
	s_and_saveexec_b32 s0, vcc_lo
	s_cbranch_execz .LBB0_5
; %bb.4:
	v_lshlrev_b32_e32 v0, 4, v255
	v_lshl_add_u32 v4, v206, 4, v0
	ds_read_b128 v[0:3], v4
	ds_read_b128 v[20:23], v4 offset:1248
	ds_read_b128 v[24:27], v4 offset:2496
	;; [unrolled: 1-line block ×16, first 2 shown]
.LBB0_5:
	s_or_b32 exec_lo, exec_lo, s0
	s_waitcnt lgkmcnt(0)
	v_add_f64 v[146:147], v[22:23], -v[6:7]
	s_mov_b32 s0, 0x5d8e7cdc
	s_mov_b32 s1, 0xbfd71e95
	v_add_f64 v[92:93], v[26:27], -v[10:11]
	v_add_f64 v[90:91], v[24:25], -v[8:9]
	s_mov_b32 s8, 0x2a9d6da3
	s_mov_b32 s9, 0xbfe58eea
	v_add_f64 v[98:99], v[54:55], -v[14:15]
	;; [unrolled: 4-line block ×4, first 2 shown]
	v_add_f64 v[144:145], v[20:21], v[4:5]
	v_add_f64 v[202:203], v[22:23], v[6:7]
	s_mov_b32 s10, 0x370991
	s_mov_b32 s11, 0x3fedd6d0
	v_add_f64 v[88:89], v[24:25], v[8:9]
	v_add_f64 v[104:105], v[26:27], v[10:11]
	v_mul_f64 v[32:33], v[146:147], s[0:1]
	s_mov_b32 s18, 0x75d4884
	s_mov_b32 s19, 0x3fe7a5f6
	v_mul_f64 v[36:37], v[92:93], s[8:9]
	v_mul_f64 v[38:39], v[90:91], s[8:9]
	v_add_f64 v[130:131], v[54:55], v[14:15]
	s_mov_b32 s20, 0x2b2883cd
	v_mul_f64 v[40:41], v[98:99], s[16:17]
	v_mul_f64 v[44:45], v[96:97], s[16:17]
	s_mov_b32 s21, 0x3fdc86fa
	v_add_f64 v[136:137], v[58:59], v[18:19]
	v_mul_f64 v[42:43], v[122:123], s[22:23]
	v_mul_f64 v[46:47], v[102:103], s[22:23]
	s_mov_b32 s24, 0x3259b75e
	s_mov_b32 s25, 0x3fb79ee6
	v_mul_f64 v[219:220], v[207:208], s[0:1]
	v_add_f64 v[138:139], v[62:63], -v[30:31]
	s_mov_b32 s28, 0x923c349f
	s_mov_b32 s29, 0xbfeec746
	v_add_f64 v[94:95], v[52:53], v[12:13]
	v_add_f64 v[100:101], v[56:57], v[16:17]
	;; [unrolled: 1-line block ×3, first 2 shown]
	buffer_store_dword v32, off, s[60:63], 0 offset:364 ; 4-byte Folded Spill
	buffer_store_dword v33, off, s[60:63], 0 offset:368 ; 4-byte Folded Spill
	buffer_store_dword v36, off, s[60:63], 0 offset:12 ; 4-byte Folded Spill
	buffer_store_dword v37, off, s[60:63], 0 offset:16 ; 4-byte Folded Spill
	buffer_store_dword v38, off, s[60:63], 0 offset:36 ; 4-byte Folded Spill
	buffer_store_dword v39, off, s[60:63], 0 offset:40 ; 4-byte Folded Spill
	buffer_store_dword v40, off, s[60:63], 0 offset:20 ; 4-byte Folded Spill
	buffer_store_dword v41, off, s[60:63], 0 offset:24 ; 4-byte Folded Spill
	buffer_store_dword v44, off, s[60:63], 0 offset:348 ; 4-byte Folded Spill
	buffer_store_dword v45, off, s[60:63], 0 offset:352 ; 4-byte Folded Spill
	buffer_store_dword v42, off, s[60:63], 0 offset:332 ; 4-byte Folded Spill
	buffer_store_dword v43, off, s[60:63], 0 offset:336 ; 4-byte Folded Spill
	buffer_store_dword v46, off, s[60:63], 0 offset:396 ; 4-byte Folded Spill
	buffer_store_dword v47, off, s[60:63], 0 offset:400 ; 4-byte Folded Spill
	s_mov_b32 s26, 0xc61f0d01
	s_mov_b32 s27, 0xbfd183b1
	v_fma_f64 v[34:35], v[202:203], s[10:11], -v[219:220]
	v_add_f64 v[112:113], v[60:61], -v[28:29]
	v_add_f64 v[140:141], v[62:63], v[30:31]
	v_add_f64 v[114:115], v[70:71], -v[66:67]
	s_mov_b32 s38, 0x6c9a05f6
	s_mov_b32 s39, 0xbfe9895b
	v_add_f64 v[110:111], v[68:69], v[64:65]
	v_add_f64 v[118:119], v[68:69], -v[64:65]
	s_mov_b32 s36, 0x6ed5f1bb
	s_mov_b32 s37, 0xbfe348c8
	;; [unrolled: 4-line block ×3, first 2 shown]
	s_mov_b32 s49, 0xbfe0d888
	s_mov_b32 s48, s42
	v_add_f64 v[108:109], v[72:73], v[84:85]
	v_add_f64 v[116:117], v[72:73], -v[84:85]
	s_mov_b32 s40, 0x910ea3b9
	s_mov_b32 s41, 0xbfeb34fa
	v_add_f64 v[124:125], v[74:75], v[86:87]
	v_add_f64 v[132:133], v[78:79], -v[82:83]
	v_add_f64 v[34:35], v[2:3], v[34:35]
	s_mov_b32 s34, 0xacd6c6b4
	s_mov_b32 s35, 0xbfc7851a
	v_add_f64 v[126:127], v[76:77], v[80:81]
	v_add_f64 v[128:129], v[76:77], -v[80:81]
	s_mov_b32 s30, 0x7faef3
	s_mov_b32 s31, 0xbfef7484
	v_mul_f64 v[215:216], v[118:119], s[38:39]
	v_add_f64 v[134:135], v[78:79], v[82:83]
	v_mul_f64 v[190:191], v[146:147], s[8:9]
	v_mul_f64 v[223:224], v[92:93], s[22:23]
	;; [unrolled: 1-line block ×13, first 2 shown]
	s_mov_b32 s45, 0x3feec746
	s_mov_b32 s44, s28
	;; [unrolled: 1-line block ×3, first 2 shown]
	v_mul_f64 v[239:240], v[114:115], s[44:45]
	v_mul_f64 v[227:228], v[128:129], s[34:35]
	;; [unrolled: 1-line block ×3, first 2 shown]
	s_mov_b32 s46, s16
	s_mov_b32 s53, 0x3fd71e95
	v_mul_f64 v[241:242], v[120:121], s[46:47]
	v_mul_f64 v[148:149], v[116:117], s[46:47]
	s_mov_b32 s52, s0
	v_mul_f64 v[194:195], v[146:147], s[16:17]
	v_mul_f64 v[243:244], v[132:133], s[52:53]
	;; [unrolled: 1-line block ×6, first 2 shown]
	s_mov_b32 s51, 0x3fc7851a
	s_mov_b32 s50, s34
	v_mul_f64 v[152:153], v[122:123], s[44:45]
	v_mul_f64 v[251:252], v[98:99], s[50:51]
	;; [unrolled: 1-line block ×4, first 2 shown]
	s_mov_b32 s55, 0x3fe58eea
	s_mov_b32 s54, s8
	v_mul_f64 v[166:167], v[114:115], s[0:1]
	v_mul_f64 v[164:165], v[138:139], s[54:55]
	;; [unrolled: 1-line block ×18, first 2 shown]
	s_mov_b32 s59, 0x3fe9895b
	s_mov_b32 s58, s38
	v_mul_f64 v[211:212], v[90:91], s[42:43]
	v_mul_f64 v[204:205], v[146:147], s[28:29]
	v_mul_f64 v[209:210], v[207:208], s[28:29]
	s_mov_b32 s57, 0x3fefdd0d
	s_mov_b32 s56, s22
	v_fma_f64 v[48:49], v[104:105], s[30:31], -v[172:173]
	v_fma_f64 v[32:33], v[144:145], s[10:11], v[32:33]
	v_fma_f64 v[36:37], v[88:89], s[18:19], v[36:37]
	v_fma_f64 v[38:39], v[104:105], s[18:19], -v[38:39]
	v_fma_f64 v[40:41], v[94:95], s[20:21], v[40:41]
	v_add_f64 v[32:33], v[0:1], v[32:33]
	v_add_f64 v[34:35], v[38:39], v[34:35]
	v_fma_f64 v[38:39], v[100:101], s[24:25], v[42:43]
	v_fma_f64 v[42:43], v[88:89], s[36:37], v[233:234]
	v_add_f64 v[32:33], v[36:37], v[32:33]
	v_fma_f64 v[36:37], v[130:131], s[20:21], -v[44:45]
	v_fma_f64 v[44:45], v[104:105], s[36:37], -v[154:155]
	v_add_f64 v[32:33], v[40:41], v[32:33]
	v_add_f64 v[34:35], v[36:37], v[34:35]
	v_fma_f64 v[36:37], v[136:137], s[24:25], -v[46:47]
	v_fma_f64 v[40:41], v[104:105], s[24:25], -v[231:232]
	v_fma_f64 v[46:47], v[88:89], s[30:31], v[249:250]
	v_add_f64 v[32:33], v[38:39], v[32:33]
	v_fma_f64 v[38:39], v[88:89], s[24:25], v[223:224]
	v_add_f64 v[34:35], v[36:37], v[34:35]
	v_mul_f64 v[36:37], v[138:139], s[28:29]
	buffer_store_dword v36, off, s[60:63], 0 offset:412 ; 4-byte Folded Spill
	buffer_store_dword v37, off, s[60:63], 0 offset:416 ; 4-byte Folded Spill
	v_fma_f64 v[36:37], v[106:107], s[26:27], v[36:37]
	v_add_f64 v[32:33], v[36:37], v[32:33]
	v_mul_f64 v[36:37], v[112:113], s[28:29]
	buffer_store_dword v36, off, s[60:63], 0 offset:420 ; 4-byte Folded Spill
	buffer_store_dword v37, off, s[60:63], 0 offset:424 ; 4-byte Folded Spill
	v_fma_f64 v[36:37], v[140:141], s[26:27], -v[36:37]
	v_add_f64 v[34:35], v[36:37], v[34:35]
	v_mul_f64 v[36:37], v[114:115], s[38:39]
	buffer_store_dword v36, off, s[60:63], 0 offset:428 ; 4-byte Folded Spill
	buffer_store_dword v37, off, s[60:63], 0 offset:432 ; 4-byte Folded Spill
	v_fma_f64 v[36:37], v[110:111], s[36:37], v[36:37]
	v_add_f64 v[32:33], v[36:37], v[32:33]
	v_fma_f64 v[36:37], v[142:143], s[36:37], -v[215:216]
	v_add_f64 v[34:35], v[36:37], v[34:35]
	v_fma_f64 v[36:37], v[108:109], s[40:41], v[213:214]
	v_add_f64 v[32:33], v[36:37], v[32:33]
	v_fma_f64 v[36:37], v[124:125], s[40:41], -v[217:218]
	v_add_f64 v[34:35], v[36:37], v[34:35]
	v_fma_f64 v[36:37], v[126:127], s[30:31], v[221:222]
	v_add_f64 v[32:33], v[36:37], v[32:33]
	v_fma_f64 v[36:37], v[134:135], s[30:31], -v[227:228]
	v_add_f64 v[34:35], v[36:37], v[34:35]
	v_fma_f64 v[36:37], v[144:145], s[18:19], v[190:191]
	v_add_f64 v[36:37], v[0:1], v[36:37]
	v_add_f64 v[36:37], v[38:39], v[36:37]
	v_fma_f64 v[38:39], v[202:203], s[18:19], -v[192:193]
	v_add_f64 v[38:39], v[2:3], v[38:39]
	v_add_f64 v[38:39], v[40:41], v[38:39]
	v_fma_f64 v[40:41], v[94:95], s[36:37], v[225:226]
	v_add_f64 v[36:37], v[40:41], v[36:37]
	v_fma_f64 v[40:41], v[130:131], s[36:37], -v[237:238]
	v_add_f64 v[38:39], v[40:41], v[38:39]
	v_fma_f64 v[40:41], v[100:101], s[30:31], v[229:230]
	v_add_f64 v[36:37], v[40:41], v[36:37]
	v_fma_f64 v[40:41], v[136:137], s[30:31], -v[245:246]
	v_add_f64 v[38:39], v[40:41], v[38:39]
	v_fma_f64 v[40:41], v[106:107], s[40:41], v[235:236]
	v_add_f64 v[36:37], v[40:41], v[36:37]
	v_fma_f64 v[40:41], v[140:141], s[40:41], -v[247:248]
	v_add_f64 v[38:39], v[40:41], v[38:39]
	v_fma_f64 v[40:41], v[110:111], s[26:27], v[239:240]
	v_add_f64 v[36:37], v[40:41], v[36:37]
	v_fma_f64 v[40:41], v[142:143], s[26:27], -v[253:254]
	v_add_f64 v[38:39], v[40:41], v[38:39]
	v_fma_f64 v[40:41], v[108:109], s[20:21], v[241:242]
	v_add_f64 v[36:37], v[40:41], v[36:37]
	v_fma_f64 v[40:41], v[124:125], s[20:21], -v[148:149]
	v_add_f64 v[38:39], v[40:41], v[38:39]
	v_fma_f64 v[40:41], v[126:127], s[10:11], v[243:244]
	v_add_f64 v[36:37], v[40:41], v[36:37]
	v_fma_f64 v[40:41], v[134:135], s[10:11], -v[150:151]
	v_add_f64 v[38:39], v[40:41], v[38:39]
	v_fma_f64 v[40:41], v[144:145], s[20:21], v[194:195]
	v_add_f64 v[40:41], v[0:1], v[40:41]
	v_add_f64 v[40:41], v[42:43], v[40:41]
	v_fma_f64 v[42:43], v[202:203], s[20:21], -v[196:197]
	v_add_f64 v[42:43], v[2:3], v[42:43]
	v_add_f64 v[42:43], v[44:45], v[42:43]
	v_fma_f64 v[44:45], v[94:95], s[30:31], v[251:252]
	v_add_f64 v[40:41], v[44:45], v[40:41]
	v_fma_f64 v[44:45], v[130:131], s[30:31], -v[168:169]
	v_add_f64 v[42:43], v[44:45], v[42:43]
	v_fma_f64 v[44:45], v[100:101], s[26:27], v[152:153]
	v_add_f64 v[40:41], v[44:45], v[40:41]
	v_fma_f64 v[44:45], v[136:137], s[26:27], -v[176:177]
	v_add_f64 v[42:43], v[44:45], v[42:43]
	v_fma_f64 v[44:45], v[106:107], s[18:19], v[164:165]
	v_add_f64 v[40:41], v[44:45], v[40:41]
	v_fma_f64 v[44:45], v[140:141], s[18:19], -v[184:185]
	v_add_f64 v[42:43], v[44:45], v[42:43]
	;; [unrolled: 30-line block ×3, first 2 shown]
	v_mul_f64 v[48:49], v[114:115], s[48:49]
	buffer_store_dword v48, off, s[60:63], 0 offset:84 ; 4-byte Folded Spill
	buffer_store_dword v49, off, s[60:63], 0 offset:88 ; 4-byte Folded Spill
	v_fma_f64 v[48:49], v[110:111], s[40:41], v[48:49]
	v_add_f64 v[44:45], v[48:49], v[44:45]
	v_mul_f64 v[48:49], v[118:119], s[48:49]
	buffer_store_dword v48, off, s[60:63], 0 offset:164 ; 4-byte Folded Spill
	buffer_store_dword v49, off, s[60:63], 0 offset:168 ; 4-byte Folded Spill
	v_fma_f64 v[48:49], v[142:143], s[40:41], -v[48:49]
	v_add_f64 v[46:47], v[48:49], v[46:47]
	v_mul_f64 v[48:49], v[120:121], s[58:59]
	buffer_store_dword v48, off, s[60:63], 0 offset:100 ; 4-byte Folded Spill
	buffer_store_dword v49, off, s[60:63], 0 offset:104 ; 4-byte Folded Spill
	v_fma_f64 v[48:49], v[108:109], s[36:37], v[48:49]
	v_add_f64 v[44:45], v[48:49], v[44:45]
	v_mul_f64 v[48:49], v[116:117], s[58:59]
	buffer_store_dword v48, off, s[60:63], 0 offset:180 ; 4-byte Folded Spill
	buffer_store_dword v49, off, s[60:63], 0 offset:184 ; 4-byte Folded Spill
	v_fma_f64 v[48:49], v[124:125], s[36:37], -v[48:49]
	v_add_f64 v[46:47], v[48:49], v[46:47]
	;; [unrolled: 10-line block ×3, first 2 shown]
	v_mul_f64 v[46:47], v[92:93], s[42:43]
	buffer_store_dword v46, off, s[60:63], 0 offset:52 ; 4-byte Folded Spill
	buffer_store_dword v47, off, s[60:63], 0 offset:56 ; 4-byte Folded Spill
	;; [unrolled: 1-line block ×4, first 2 shown]
	v_fma_f64 v[44:45], v[144:145], s[26:27], v[204:205]
	v_add_f64 v[44:45], v[0:1], v[44:45]
	v_fma_f64 v[46:47], v[88:89], s[40:41], v[46:47]
	v_fma_f64 v[211:212], v[104:105], s[40:41], -v[211:212]
	v_add_f64 v[44:45], v[46:47], v[44:45]
	v_fma_f64 v[46:47], v[202:203], s[26:27], -v[209:210]
	v_add_f64 v[46:47], v[2:3], v[46:47]
	v_add_f64 v[46:47], v[211:212], v[46:47]
	v_mul_f64 v[211:212], v[98:99], s[54:55]
	buffer_store_dword v211, off, s[60:63], 0 offset:68 ; 4-byte Folded Spill
	buffer_store_dword v212, off, s[60:63], 0 offset:72 ; 4-byte Folded Spill
	v_fma_f64 v[211:212], v[94:95], s[18:19], v[211:212]
	v_add_f64 v[44:45], v[211:212], v[44:45]
	v_mul_f64 v[211:212], v[96:97], s[54:55]
	buffer_store_dword v211, off, s[60:63], 0 offset:276 ; 4-byte Folded Spill
	buffer_store_dword v212, off, s[60:63], 0 offset:280 ; 4-byte Folded Spill
	v_fma_f64 v[211:212], v[130:131], s[18:19], -v[211:212]
	v_add_f64 v[46:47], v[211:212], v[46:47]
	v_mul_f64 v[211:212], v[122:123], s[16:17]
	buffer_store_dword v211, off, s[60:63], 0 offset:132 ; 4-byte Folded Spill
	buffer_store_dword v212, off, s[60:63], 0 offset:136 ; 4-byte Folded Spill
	v_fma_f64 v[211:212], v[100:101], s[20:21], v[211:212]
	v_add_f64 v[44:45], v[211:212], v[44:45]
	v_mul_f64 v[211:212], v[102:103], s[16:17]
	buffer_store_dword v211, off, s[60:63], 0 offset:300 ; 4-byte Folded Spill
	buffer_store_dword v212, off, s[60:63], 0 offset:304 ; 4-byte Folded Spill
	v_fma_f64 v[211:212], v[136:137], s[20:21], -v[211:212]
	;; [unrolled: 10-line block ×5, first 2 shown]
	v_add_f64 v[46:47], v[211:212], v[46:47]
	v_mul_f64 v[211:212], v[132:133], s[38:39]
	buffer_store_dword v211, off, s[60:63], 0 offset:244 ; 4-byte Folded Spill
	buffer_store_dword v212, off, s[60:63], 0 offset:248 ; 4-byte Folded Spill
	v_fma_f64 v[211:212], v[126:127], s[36:37], v[211:212]
	v_add_f64 v[44:45], v[211:212], v[44:45]
	v_mul_f64 v[211:212], v[128:129], s[38:39]
	buffer_store_dword v211, off, s[60:63], 0 offset:292 ; 4-byte Folded Spill
	buffer_store_dword v212, off, s[60:63], 0 offset:296 ; 4-byte Folded Spill
	s_clause 0x1
	s_load_dwordx2 s[6:7], s[4:5], 0x20
	s_load_dwordx2 s[2:3], s[4:5], 0x8
	s_waitcnt lgkmcnt(0)
	s_waitcnt_vscnt null, 0x0
	s_barrier
	buffer_gl0_inv
	v_fma_f64 v[211:212], v[134:135], s[36:37], -v[211:212]
	v_add_f64 v[46:47], v[211:212], v[46:47]
	s_and_saveexec_b32 s4, vcc_lo
	s_cbranch_execz .LBB0_7
; %bb.6:
	v_add_f64 v[20:21], v[0:1], v[20:21]
	v_add_f64 v[22:23], v[2:3], v[22:23]
	v_mul_f64 v[211:212], v[142:143], s[26:27]
	v_add_f64 v[20:21], v[20:21], v[24:25]
	v_add_f64 v[22:23], v[22:23], v[26:27]
	v_add_f64 v[211:212], v[253:254], v[211:212]
	v_add_f64 v[20:21], v[20:21], v[52:53]
	v_add_f64 v[22:23], v[22:23], v[54:55]
	v_add_f64 v[20:21], v[20:21], v[56:57]
	v_add_f64 v[22:23], v[22:23], v[58:59]
	v_add_f64 v[20:21], v[20:21], v[60:61]
	v_add_f64 v[22:23], v[22:23], v[62:63]
	v_mul_f64 v[62:63], v[146:147], s[38:39]
	v_mul_f64 v[60:61], v[146:147], s[48:49]
	v_add_f64 v[20:21], v[20:21], v[68:69]
	v_add_f64 v[22:23], v[22:23], v[70:71]
	v_fma_f64 v[68:69], v[144:145], s[36:37], v[62:63]
	v_fma_f64 v[62:63], v[144:145], s[36:37], -v[62:63]
	v_mul_f64 v[70:71], v[144:145], s[10:11]
	v_add_f64 v[20:21], v[20:21], v[72:73]
	v_add_f64 v[22:23], v[22:23], v[74:75]
	s_clause 0x1
	buffer_load_dword v72, off, s[60:63], 0 offset:364
	buffer_load_dword v73, off, s[60:63], 0 offset:368
	v_add_f64 v[20:21], v[20:21], v[76:77]
	v_add_f64 v[22:23], v[22:23], v[78:79]
	;; [unrolled: 1-line block ×6, first 2 shown]
	v_mul_f64 v[86:87], v[110:111], s[36:37]
	v_add_f64 v[20:21], v[20:21], v[64:65]
	v_add_f64 v[22:23], v[22:23], v[66:67]
	v_fma_f64 v[66:67], v[144:145], s[40:41], v[60:61]
	v_fma_f64 v[60:61], v[144:145], s[40:41], -v[60:61]
	v_add_f64 v[20:21], v[20:21], v[28:29]
	v_add_f64 v[22:23], v[22:23], v[30:31]
	;; [unrolled: 1-line block ×8, first 2 shown]
	v_mul_f64 v[12:13], v[202:203], s[40:41]
	v_add_f64 v[10:11], v[14:15], v[10:11]
	v_add_f64 v[4:5], v[8:9], v[4:5]
	v_fma_f64 v[14:15], v[207:208], s[42:43], v[12:13]
	v_fma_f64 v[16:17], v[207:208], s[48:49], v[12:13]
	v_mul_f64 v[12:13], v[202:203], s[36:37]
	v_mul_f64 v[8:9], v[202:203], s[30:31]
	v_add_f64 v[6:7], v[10:11], v[6:7]
	v_add_f64 v[14:15], v[2:3], v[14:15]
	v_add_f64 v[16:17], v[2:3], v[16:17]
	v_fma_f64 v[18:19], v[207:208], s[58:59], v[12:13]
	v_fma_f64 v[20:21], v[207:208], s[38:39], v[12:13]
	v_mul_f64 v[12:13], v[202:203], s[26:27]
	v_fma_f64 v[10:11], v[207:208], s[50:51], v[8:9]
	v_fma_f64 v[8:9], v[207:208], s[34:35], v[8:9]
	v_mul_f64 v[207:208], v[140:141], s[40:41]
	v_add_f64 v[22:23], v[209:210], v[12:13]
	v_mul_f64 v[12:13], v[144:145], s[26:27]
	v_add_f64 v[74:75], v[2:3], v[8:9]
	v_add_f64 v[8:9], v[0:1], v[68:69]
	;; [unrolled: 1-line block ×3, first 2 shown]
	v_mul_f64 v[209:210], v[106:107], s[40:41]
	v_add_f64 v[22:23], v[2:3], v[22:23]
	v_add_f64 v[24:25], v[12:13], -v[204:205]
	v_mul_f64 v[12:13], v[202:203], s[24:25]
	v_mul_f64 v[204:205], v[100:101], s[30:31]
	v_add_f64 v[209:210], v[209:210], -v[235:236]
	v_add_f64 v[24:25], v[0:1], v[24:25]
	v_add_f64 v[26:27], v[200:201], v[12:13]
	v_mul_f64 v[12:13], v[144:145], s[24:25]
	v_mul_f64 v[200:201], v[94:95], s[36:37]
	v_add_f64 v[204:205], v[204:205], -v[229:230]
	v_add_f64 v[26:27], v[2:3], v[26:27]
	v_add_f64 v[28:29], v[12:13], -v[198:199]
	v_mul_f64 v[12:13], v[202:203], s[20:21]
	v_add_f64 v[200:201], v[200:201], -v[225:226]
	v_mul_f64 v[225:226], v[94:95], s[26:27]
	v_mul_f64 v[198:199], v[130:131], s[36:37]
	s_waitcnt vmcnt(0)
	v_add_f64 v[70:71], v[70:71], -v[72:73]
	v_add_f64 v[72:73], v[2:3], v[10:11]
	v_add_f64 v[10:11], v[2:3], v[18:19]
	;; [unrolled: 1-line block ×4, first 2 shown]
	s_clause 0x1
	buffer_load_dword v62, off, s[60:63], 0 offset:36
	buffer_load_dword v63, off, s[60:63], 0 offset:40
	v_add_f64 v[28:29], v[0:1], v[28:29]
	v_add_f64 v[30:31], v[196:197], v[12:13]
	v_mul_f64 v[12:13], v[144:145], s[20:21]
	v_add_f64 v[158:159], v[225:226], -v[158:159]
	v_mul_f64 v[225:226], v[100:101], s[10:11]
	v_mul_f64 v[196:197], v[88:89], s[24:25]
	v_add_f64 v[198:199], v[237:238], v[198:199]
	v_add_f64 v[30:31], v[2:3], v[30:31]
	v_add_f64 v[52:53], v[12:13], -v[194:195]
	v_mul_f64 v[12:13], v[202:203], s[18:19]
	v_add_f64 v[162:163], v[225:226], -v[162:163]
	v_mul_f64 v[225:226], v[106:107], s[20:21]
	;; [unrolled: 2-line block ×3, first 2 shown]
	v_mul_f64 v[194:195], v[104:105], s[24:25]
	v_add_f64 v[52:53], v[0:1], v[52:53]
	v_add_f64 v[54:55], v[192:193], v[12:13]
	v_mul_f64 v[12:13], v[144:145], s[18:19]
	v_add_f64 v[170:171], v[225:226], -v[170:171]
	v_mul_f64 v[225:226], v[104:105], s[10:11]
	v_mul_f64 v[192:193], v[126:127], s[30:31]
	v_add_f64 v[152:153], v[223:224], -v[152:153]
	v_add_f64 v[194:195], v[231:232], v[194:195]
	v_mul_f64 v[223:224], v[106:107], s[18:19]
	v_add_f64 v[54:55], v[2:3], v[54:55]
	v_add_f64 v[56:57], v[12:13], -v[190:191]
	v_mul_f64 v[12:13], v[202:203], s[10:11]
	v_mul_f64 v[190:191], v[134:135], s[30:31]
	v_add_f64 v[192:193], v[192:193], -v[221:222]
	v_mul_f64 v[221:222], v[140:141], s[18:19]
	v_mul_f64 v[202:203], v[136:137], s[30:31]
	v_add_f64 v[164:165], v[223:224], -v[164:165]
	v_mul_f64 v[223:224], v[142:143], s[10:11]
	v_add_f64 v[54:55], v[194:195], v[54:55]
	v_add_f64 v[56:57], v[0:1], v[56:57]
	;; [unrolled: 1-line block ×3, first 2 shown]
	v_mul_f64 v[12:13], v[146:147], s[34:35]
	v_add_f64 v[190:191], v[227:228], v[190:191]
	v_fma_f64 v[227:228], v[90:91], s[0:1], v[225:226]
	v_fma_f64 v[225:226], v[90:91], s[52:53], v[225:226]
	v_mul_f64 v[219:220], v[104:105], s[36:37]
	v_add_f64 v[184:185], v[184:185], v[221:222]
	v_mul_f64 v[221:222], v[94:95], s[30:31]
	v_add_f64 v[202:203], v[245:246], v[202:203]
	v_add_f64 v[180:181], v[180:181], v[223:224]
	v_mul_f64 v[223:224], v[110:111], s[10:11]
	v_mul_f64 v[146:147], v[108:109], s[40:41]
	v_add_f64 v[54:55], v[198:199], v[54:55]
	v_add_f64 v[56:57], v[196:197], v[56:57]
	;; [unrolled: 1-line block ×3, first 2 shown]
	v_fma_f64 v[64:65], v[144:145], s[30:31], v[12:13]
	v_fma_f64 v[12:13], v[144:145], s[30:31], -v[12:13]
	v_mul_f64 v[58:59], v[104:105], s[18:19]
	v_add_f64 v[72:73], v[227:228], v[72:73]
	v_mul_f64 v[227:228], v[92:93], s[52:53]
	v_add_f64 v[74:75], v[225:226], v[74:75]
	v_add_f64 v[154:155], v[154:155], v[219:220]
	v_mul_f64 v[219:220], v[130:131], s[30:31]
	v_add_f64 v[221:222], v[221:222], -v[251:252]
	v_add_f64 v[166:167], v[223:224], -v[166:167]
	v_mul_f64 v[223:224], v[124:125], s[24:25]
	v_add_f64 v[146:147], v[146:147], -v[213:214]
	v_mul_f64 v[213:214], v[110:111], s[26:27]
	v_add_f64 v[54:55], v[202:203], v[54:55]
	v_add_f64 v[56:57], v[200:201], v[56:57]
	;; [unrolled: 1-line block ×5, first 2 shown]
	s_clause 0x3
	buffer_load_dword v66, off, s[60:63], 0 offset:12
	buffer_load_dword v67, off, s[60:63], 0 offset:16
	;; [unrolled: 1-line block ×4, first 2 shown]
	v_add_f64 v[0:1], v[0:1], v[70:71]
	s_clause 0xb
	buffer_load_dword v70, off, s[60:63], 0 offset:20
	buffer_load_dword v71, off, s[60:63], 0 offset:24
	;; [unrolled: 1-line block ×12, first 2 shown]
	v_fma_f64 v[225:226], v[88:89], s[10:11], -v[227:228]
	v_fma_f64 v[229:230], v[88:89], s[10:11], v[227:228]
	v_add_f64 v[30:31], v[154:155], v[30:31]
	v_add_f64 v[168:169], v[168:169], v[219:220]
	v_mul_f64 v[219:220], v[136:137], s[26:27]
	v_add_f64 v[178:179], v[178:179], v[223:224]
	v_mul_f64 v[223:224], v[108:109], s[24:25]
	v_add_f64 v[54:55], v[207:208], v[54:55]
	v_add_f64 v[56:57], v[204:205], v[56:57]
	v_add_f64 v[213:214], v[213:214], -v[239:240]
	v_add_f64 v[76:77], v[225:226], v[76:77]
	v_mul_f64 v[225:226], v[104:105], s[20:21]
	v_add_f64 v[64:65], v[229:230], v[64:65]
	v_add_f64 v[30:31], v[168:169], v[30:31]
	;; [unrolled: 1-line block ×3, first 2 shown]
	v_mul_f64 v[219:220], v[88:89], s[36:37]
	v_add_f64 v[160:161], v[223:224], -v[160:161]
	v_add_f64 v[54:55], v[211:212], v[54:55]
	v_mul_f64 v[223:224], v[134:135], s[40:41]
	v_add_f64 v[56:57], v[209:210], v[56:57]
	v_fma_f64 v[227:228], v[90:91], s[46:47], v[225:226]
	v_add_f64 v[30:31], v[176:177], v[30:31]
	v_add_f64 v[219:220], v[219:220], -v[233:234]
	v_add_f64 v[174:175], v[174:175], v[223:224]
	v_mul_f64 v[223:224], v[126:127], s[40:41]
	v_add_f64 v[56:57], v[213:214], v[56:57]
	v_add_f64 v[16:17], v[227:228], v[16:17]
	v_mul_f64 v[227:228], v[92:93], s[46:47]
	v_mul_f64 v[92:93], v[92:93], s[44:45]
	v_add_f64 v[30:31], v[184:185], v[30:31]
	v_add_f64 v[52:53], v[219:220], v[52:53]
	v_add_f64 v[156:157], v[223:224], -v[156:157]
	v_mul_f64 v[223:224], v[140:141], s[20:21]
	v_fma_f64 v[229:230], v[88:89], s[20:21], -v[227:228]
	v_add_f64 v[30:31], v[180:181], v[30:31]
	v_add_f64 v[52:53], v[221:222], v[52:53]
	v_add_f64 v[188:189], v[188:189], v[223:224]
	v_mul_f64 v[223:224], v[104:105], s[30:31]
	v_add_f64 v[60:61], v[229:230], v[60:61]
	v_add_f64 v[30:31], v[178:179], v[30:31]
	;; [unrolled: 1-line block ×4, first 2 shown]
	v_mul_f64 v[223:224], v[130:131], s[26:27]
	v_add_f64 v[52:53], v[164:165], v[52:53]
	v_add_f64 v[26:27], v[172:173], v[26:27]
	;; [unrolled: 1-line block ×3, first 2 shown]
	v_mul_f64 v[223:224], v[136:137], s[10:11]
	v_add_f64 v[52:53], v[166:167], v[52:53]
	s_waitcnt vmcnt(16)
	v_add_f64 v[58:59], v[62:63], v[58:59]
	v_mul_f64 v[62:63], v[88:89], s[18:19]
	v_add_f64 v[26:27], v[182:183], v[26:27]
	v_add_f64 v[186:187], v[186:187], v[223:224]
	v_mul_f64 v[223:224], v[88:89], s[30:31]
	v_add_f64 v[52:53], v[160:161], v[52:53]
	;; [unrolled: 3-line block ×3, first 2 shown]
	v_add_f64 v[223:224], v[223:224], -v[249:250]
	v_add_f64 v[28:29], v[223:224], v[28:29]
	v_add_f64 v[28:29], v[158:159], v[28:29]
	v_add_f64 v[28:29], v[162:163], v[28:29]
	v_add_f64 v[28:29], v[170:171], v[28:29]
	s_waitcnt vmcnt(14)
	v_add_f64 v[62:63], v[62:63], -v[66:67]
	v_mul_f64 v[66:67], v[130:131], s[20:21]
	s_waitcnt vmcnt(0)
	v_add_f64 v[86:87], v[86:87], -v[144:145]
	v_mul_f64 v[144:145], v[124:125], s[40:41]
	v_add_f64 v[0:1], v[62:63], v[0:1]
	v_add_f64 v[66:67], v[68:69], v[66:67]
	v_mul_f64 v[68:69], v[94:95], s[20:21]
	v_fma_f64 v[62:63], v[96:97], s[42:43], v[58:59]
	v_fma_f64 v[58:59], v[96:97], s[48:49], v[58:59]
	v_add_f64 v[144:145], v[217:218], v[144:145]
	v_mul_f64 v[217:218], v[134:135], s[10:11]
	v_add_f64 v[2:3], v[66:67], v[2:3]
	v_add_f64 v[68:69], v[68:69], -v[70:71]
	v_mul_f64 v[70:71], v[136:137], s[24:25]
	v_add_f64 v[62:63], v[62:63], v[72:73]
	v_mul_f64 v[72:73], v[98:99], s[48:49]
	v_add_f64 v[58:59], v[58:59], v[74:75]
	v_mul_f64 v[74:75], v[130:131], s[24:25]
	v_mul_f64 v[66:67], v[136:137], s[18:19]
	v_add_f64 v[150:151], v[150:151], v[217:218]
	v_mul_f64 v[217:218], v[126:127], s[10:11]
	v_add_f64 v[0:1], v[68:69], v[0:1]
	v_add_f64 v[70:71], v[78:79], v[70:71]
	v_mul_f64 v[78:79], v[100:101], s[24:25]
	v_fma_f64 v[154:155], v[94:95], s[40:41], v[72:73]
	v_fma_f64 v[72:73], v[94:95], s[40:41], -v[72:73]
	v_fma_f64 v[68:69], v[102:103], s[8:9], v[66:67]
	v_fma_f64 v[66:67], v[102:103], s[54:55], v[66:67]
	v_add_f64 v[217:218], v[217:218], -v[243:244]
	v_add_f64 v[2:3], v[70:71], v[2:3]
	v_add_f64 v[78:79], v[78:79], -v[80:81]
	v_mul_f64 v[70:71], v[140:141], s[36:37]
	v_add_f64 v[72:73], v[72:73], v[76:77]
	v_fma_f64 v[76:77], v[96:97], s[22:23], v[74:75]
	v_mul_f64 v[80:81], v[140:141], s[26:27]
	v_add_f64 v[62:63], v[68:69], v[62:63]
	v_mul_f64 v[68:69], v[122:123], s[54:55]
	v_add_f64 v[64:65], v[154:155], v[64:65]
	v_add_f64 v[58:59], v[66:67], v[58:59]
	v_fma_f64 v[74:75], v[96:97], s[56:57], v[74:75]
	v_add_f64 v[0:1], v[78:79], v[0:1]
	v_fma_f64 v[78:79], v[112:113], s[58:59], v[70:71]
	v_fma_f64 v[70:71], v[112:113], s[38:39], v[70:71]
	v_add_f64 v[16:17], v[76:77], v[16:17]
	v_mul_f64 v[76:77], v[98:99], s[22:23]
	v_add_f64 v[80:81], v[82:83], v[80:81]
	v_mul_f64 v[82:83], v[106:107], s[26:27]
	v_fma_f64 v[66:67], v[100:101], s[18:19], -v[68:69]
	v_mul_f64 v[98:99], v[98:99], s[0:1]
	v_add_f64 v[62:63], v[78:79], v[62:63]
	v_mul_f64 v[78:79], v[138:139], s[38:39]
	v_add_f64 v[58:59], v[70:71], v[58:59]
	v_fma_f64 v[154:155], v[94:95], s[24:25], -v[76:77]
	v_add_f64 v[2:3], v[80:81], v[2:3]
	v_add_f64 v[82:83], v[82:83], -v[84:85]
	v_add_f64 v[66:67], v[66:67], v[72:73]
	v_mul_f64 v[80:81], v[142:143], s[20:21]
	v_mul_f64 v[84:85], v[142:143], s[36:37]
	v_fma_f64 v[70:71], v[106:107], s[36:37], -v[78:79]
	v_fma_f64 v[152:153], v[106:107], s[36:37], v[78:79]
	v_add_f64 v[60:61], v[154:155], v[60:61]
	v_fma_f64 v[154:155], v[100:101], s[18:19], v[68:69]
	v_mul_f64 v[68:69], v[136:137], s[36:37]
	v_add_f64 v[0:1], v[82:83], v[0:1]
	v_fma_f64 v[82:83], v[118:119], s[16:17], v[80:81]
	v_add_f64 v[84:85], v[215:216], v[84:85]
	v_fma_f64 v[80:81], v[118:119], s[46:47], v[80:81]
	v_mul_f64 v[215:216], v[124:125], s[20:21]
	v_add_f64 v[66:67], v[70:71], v[66:67]
	v_mul_f64 v[70:71], v[140:141], s[10:11]
	v_add_f64 v[64:65], v[154:155], v[64:65]
	v_fma_f64 v[72:73], v[102:103], s[58:59], v[68:69]
	v_add_f64 v[0:1], v[86:87], v[0:1]
	v_add_f64 v[62:63], v[82:83], v[62:63]
	v_mul_f64 v[82:83], v[114:115], s[46:47]
	v_add_f64 v[58:59], v[80:81], v[58:59]
	v_add_f64 v[2:3], v[84:85], v[2:3]
	v_mul_f64 v[84:85], v[124:125], s[26:27]
	v_add_f64 v[148:149], v[148:149], v[215:216]
	v_fma_f64 v[68:69], v[102:103], s[38:39], v[68:69]
	v_mul_f64 v[215:216], v[108:109], s[20:21]
	v_fma_f64 v[78:79], v[112:113], s[0:1], v[70:71]
	v_add_f64 v[64:65], v[152:153], v[64:65]
	v_add_f64 v[16:17], v[72:73], v[16:17]
	v_mul_f64 v[72:73], v[122:123], s[58:59]
	v_add_f64 v[146:147], v[146:147], v[0:1]
	v_fma_f64 v[80:81], v[110:111], s[20:21], -v[82:83]
	v_mul_f64 v[0:1], v[142:143], s[40:41]
	v_add_f64 v[144:145], v[144:145], v[2:3]
	v_fma_f64 v[86:87], v[116:117], s[44:45], v[84:85]
	v_fma_f64 v[84:85], v[116:117], s[28:29], v[84:85]
	s_clause 0x1
	buffer_load_dword v2, off, s[60:63], 0 offset:164
	buffer_load_dword v3, off, s[60:63], 0 offset:168
	v_add_f64 v[54:55], v[148:149], v[54:55]
	s_clause 0x1
	buffer_load_dword v148, off, s[60:63], 0 offset:84
	buffer_load_dword v149, off, s[60:63], 0 offset:88
	v_mul_f64 v[122:123], v[122:123], s[48:49]
	v_add_f64 v[215:216], v[215:216], -v[241:242]
	v_add_f64 v[16:17], v[78:79], v[16:17]
	v_fma_f64 v[154:155], v[100:101], s[36:37], -v[72:73]
	v_mul_f64 v[78:79], v[138:139], s[0:1]
	v_add_f64 v[66:67], v[80:81], v[66:67]
	v_mul_f64 v[80:81], v[142:143], s[30:31]
	v_add_f64 v[62:63], v[86:87], v[62:63]
	;; [unrolled: 2-line block ×3, first 2 shown]
	v_add_f64 v[56:57], v[215:216], v[56:57]
	v_add_f64 v[60:61], v[154:155], v[60:61]
	v_fma_f64 v[152:153], v[106:107], s[10:11], -v[78:79]
	v_fma_f64 v[84:85], v[108:109], s[26:27], -v[86:87]
	v_add_f64 v[60:61], v[152:153], v[60:61]
	v_fma_f64 v[152:153], v[110:111], s[20:21], v[82:83]
	v_fma_f64 v[82:83], v[118:119], s[34:35], v[80:81]
	v_add_f64 v[66:67], v[84:85], v[66:67]
	v_mul_f64 v[84:85], v[124:125], s[18:19]
	v_add_f64 v[64:65], v[152:153], v[64:65]
	v_add_f64 v[16:17], v[82:83], v[16:17]
	v_mul_f64 v[82:83], v[114:115], s[34:35]
	v_fma_f64 v[152:153], v[110:111], s[30:31], -v[82:83]
	v_add_f64 v[60:61], v[152:153], v[60:61]
	v_fma_f64 v[152:153], v[108:109], s[26:27], v[86:87]
	v_fma_f64 v[86:87], v[116:117], s[54:55], v[84:85]
	v_add_f64 v[64:65], v[152:153], v[64:65]
	v_add_f64 v[16:17], v[86:87], v[16:17]
	v_mul_f64 v[86:87], v[120:121], s[54:55]
	v_fma_f64 v[152:153], v[108:109], s[18:19], -v[86:87]
	v_fma_f64 v[86:87], v[108:109], s[18:19], v[86:87]
	v_add_f64 v[60:61], v[152:153], v[60:61]
	s_clause 0x1
	buffer_load_dword v152, off, s[60:63], 0 offset:180
	buffer_load_dword v153, off, s[60:63], 0 offset:184
	s_waitcnt vmcnt(4)
	v_add_f64 v[0:1], v[2:3], v[0:1]
	v_add_f64 v[2:3], v[188:189], v[26:27]
	v_mul_f64 v[26:27], v[110:111], s[40:41]
	v_add_f64 v[0:1], v[0:1], v[2:3]
	s_waitcnt vmcnt(2)
	v_add_f64 v[26:27], v[26:27], -v[148:149]
	v_mul_f64 v[148:149], v[124:125], s[36:37]
	v_mul_f64 v[2:3], v[108:109], s[36:37]
	v_add_f64 v[26:27], v[26:27], v[28:29]
	v_mul_f64 v[28:29], v[134:135], s[18:19]
	s_waitcnt vmcnt(0)
	v_add_f64 v[148:149], v[152:153], v[148:149]
	s_clause 0x1
	buffer_load_dword v152, off, s[60:63], 0 offset:100
	buffer_load_dword v153, off, s[60:63], 0 offset:104
	v_add_f64 v[148:149], v[148:149], v[0:1]
	v_mul_f64 v[0:1], v[126:127], s[18:19]
	s_waitcnt vmcnt(0)
	v_add_f64 v[2:3], v[2:3], -v[152:153]
	s_clause 0x1
	buffer_load_dword v152, off, s[60:63], 0 offset:196
	buffer_load_dword v153, off, s[60:63], 0 offset:200
	v_add_f64 v[154:155], v[2:3], v[26:27]
	s_waitcnt vmcnt(0)
	v_add_f64 v[28:29], v[152:153], v[28:29]
	s_clause 0x5
	buffer_load_dword v152, off, s[60:63], 0 offset:116
	buffer_load_dword v153, off, s[60:63], 0 offset:120
	;; [unrolled: 1-line block ×6, first 2 shown]
	s_waitcnt vmcnt(4)
	v_add_f64 v[152:153], v[0:1], -v[152:153]
	v_mul_f64 v[0:1], v[104:105], s[40:41]
	s_waitcnt vmcnt(2)
	v_add_f64 v[0:1], v[2:3], v[0:1]
	v_mul_f64 v[2:3], v[130:131], s[18:19]
	v_add_f64 v[0:1], v[0:1], v[22:23]
	s_waitcnt vmcnt(0)
	v_add_f64 v[2:3], v[26:27], v[2:3]
	s_clause 0x1
	buffer_load_dword v26, off, s[60:63], 0 offset:300
	buffer_load_dword v27, off, s[60:63], 0 offset:304
	v_mul_f64 v[22:23], v[136:137], s[20:21]
	v_add_f64 v[0:1], v[2:3], v[0:1]
	v_mul_f64 v[2:3], v[140:141], s[30:31]
	s_waitcnt vmcnt(0)
	v_add_f64 v[22:23], v[26:27], v[22:23]
	s_clause 0x1
	buffer_load_dword v26, off, s[60:63], 0 offset:316
	buffer_load_dword v27, off, s[60:63], 0 offset:320
	v_add_f64 v[0:1], v[22:23], v[0:1]
	v_mul_f64 v[22:23], v[142:143], s[24:25]
	s_waitcnt vmcnt(0)
	v_add_f64 v[2:3], v[26:27], v[2:3]
	s_clause 0x1
	buffer_load_dword v26, off, s[60:63], 0 offset:380
	buffer_load_dword v27, off, s[60:63], 0 offset:384
	;; [unrolled: 7-line block ×3, first 2 shown]
	buffer_load_dword v158, off, s[60:63], 0 offset:68
	buffer_load_dword v159, off, s[60:63], 0 offset:72
	v_add_f64 v[0:1], v[22:23], v[0:1]
	v_mul_f64 v[22:23], v[108:109], s[10:11]
	s_waitcnt vmcnt(2)
	v_add_f64 v[2:3], v[2:3], -v[26:27]
	v_mul_f64 v[26:27], v[94:95], s[18:19]
	v_add_f64 v[2:3], v[2:3], v[24:25]
	s_waitcnt vmcnt(0)
	v_add_f64 v[26:27], v[26:27], -v[158:159]
	s_clause 0x1
	buffer_load_dword v158, off, s[60:63], 0 offset:132
	buffer_load_dword v159, off, s[60:63], 0 offset:136
	v_mul_f64 v[24:25], v[100:101], s[20:21]
	v_add_f64 v[2:3], v[26:27], v[2:3]
	v_mul_f64 v[26:27], v[106:107], s[30:31]
	s_waitcnt vmcnt(0)
	v_add_f64 v[24:25], v[24:25], -v[158:159]
	s_clause 0x1
	buffer_load_dword v158, off, s[60:63], 0 offset:148
	buffer_load_dword v159, off, s[60:63], 0 offset:152
	v_add_f64 v[2:3], v[24:25], v[2:3]
	v_mul_f64 v[24:25], v[110:111], s[24:25]
	s_waitcnt vmcnt(0)
	v_add_f64 v[26:27], v[26:27], -v[158:159]
	s_clause 0x1
	buffer_load_dword v158, off, s[60:63], 0 offset:212
	buffer_load_dword v159, off, s[60:63], 0 offset:216
	;; [unrolled: 7-line block ×3, first 2 shown]
	v_add_f64 v[2:3], v[24:25], v[2:3]
	v_mul_f64 v[24:25], v[134:135], s[36:37]
	s_waitcnt vmcnt(0)
	v_add_f64 v[26:27], v[158:159], v[26:27]
	s_clause 0x1
	buffer_load_dword v158, off, s[60:63], 0 offset:228
	buffer_load_dword v159, off, s[60:63], 0 offset:232
	v_add_f64 v[160:161], v[26:27], v[0:1]
	v_mul_f64 v[0:1], v[126:127], s[36:37]
	s_waitcnt vmcnt(0)
	v_add_f64 v[22:23], v[22:23], -v[158:159]
	s_clause 0x1
	buffer_load_dword v158, off, s[60:63], 0 offset:292
	buffer_load_dword v159, off, s[60:63], 0 offset:296
	s_waitcnt vmcnt(0)
	v_add_f64 v[158:159], v[158:159], v[24:25]
	s_clause 0x1
	buffer_load_dword v24, off, s[60:63], 0 offset:244
	buffer_load_dword v25, off, s[60:63], 0 offset:248
	s_waitcnt vmcnt(0)
	v_add_f64 v[162:163], v[0:1], -v[24:25]
	v_mul_f64 v[0:1], v[104:105], s[26:27]
	v_fma_f64 v[24:25], v[90:91], s[44:45], v[0:1]
	v_fma_f64 v[0:1], v[90:91], s[28:29], v[0:1]
	v_add_f64 v[18:19], v[24:25], v[18:19]
	v_mul_f64 v[24:25], v[130:131], s[10:11]
	v_add_f64 v[0:1], v[0:1], v[10:11]
	v_fma_f64 v[10:11], v[100:101], s[36:37], v[72:73]
	v_mul_f64 v[72:73], v[124:125], s[30:31]
	v_fma_f64 v[26:27], v[96:97], s[0:1], v[24:25]
	v_fma_f64 v[24:25], v[96:97], s[52:53], v[24:25]
	v_add_f64 v[18:19], v[26:27], v[18:19]
	v_mul_f64 v[26:27], v[136:137], s[40:41]
	v_add_f64 v[0:1], v[24:25], v[0:1]
	v_fma_f64 v[24:25], v[112:113], s[52:53], v[70:71]
	v_fma_f64 v[70:71], v[110:111], s[30:31], v[82:83]
	v_mul_f64 v[82:83], v[134:135], s[20:21]
	v_fma_f64 v[104:105], v[102:103], s[48:49], v[26:27]
	v_fma_f64 v[26:27], v[102:103], s[42:43], v[26:27]
	v_add_f64 v[18:19], v[104:105], v[18:19]
	v_mul_f64 v[104:105], v[140:141], s[24:25]
	v_add_f64 v[0:1], v[26:27], v[0:1]
	v_fma_f64 v[26:27], v[106:107], s[10:11], v[78:79]
	v_fma_f64 v[78:79], v[116:117], s[8:9], v[84:85]
	v_mul_f64 v[84:85], v[132:133], s[46:47]
	v_fma_f64 v[130:131], v[112:113], s[56:57], v[104:105]
	v_add_f64 v[18:19], v[130:131], v[18:19]
	v_mul_f64 v[130:131], v[142:143], s[18:19]
	v_fma_f64 v[136:137], v[118:119], s[8:9], v[130:131]
	v_add_f64 v[18:19], v[136:137], v[18:19]
	v_fma_f64 v[136:137], v[88:89], s[26:27], -v[92:93]
	v_add_f64 v[20:21], v[136:137], v[20:21]
	v_fma_f64 v[136:137], v[94:95], s[10:11], -v[98:99]
	;; [unrolled: 2-line block ×3, first 2 shown]
	v_add_f64 v[20:21], v[136:137], v[20:21]
	v_mul_f64 v[136:137], v[138:139], s[56:57]
	v_fma_f64 v[138:139], v[106:107], s[24:25], -v[136:137]
	v_add_f64 v[20:21], v[138:139], v[20:21]
	v_fma_f64 v[138:139], v[90:91], s[16:17], v[225:226]
	v_add_f64 v[90:91], v[22:23], v[2:3]
	v_add_f64 v[14:15], v[138:139], v[14:15]
	v_fma_f64 v[138:139], v[88:89], s[20:21], v[227:228]
	v_add_f64 v[14:15], v[74:75], v[14:15]
	v_add_f64 v[12:13], v[138:139], v[12:13]
	v_fma_f64 v[74:75], v[94:95], s[24:25], v[76:77]
	v_mul_f64 v[76:77], v[120:121], s[34:35]
	v_add_f64 v[14:15], v[68:69], v[14:15]
	v_fma_f64 v[68:69], v[88:89], s[26:27], v[92:93]
	v_add_f64 v[12:13], v[74:75], v[12:13]
	v_mul_f64 v[74:75], v[134:135], s[24:25]
	v_fma_f64 v[92:93], v[126:127], s[20:21], -v[84:85]
	v_fma_f64 v[84:85], v[126:127], s[20:21], v[84:85]
	v_add_f64 v[14:15], v[24:25], v[14:15]
	v_add_f64 v[8:9], v[68:69], v[8:9]
	;; [unrolled: 1-line block ×3, first 2 shown]
	v_fma_f64 v[12:13], v[94:95], s[10:11], v[98:99]
	v_fma_f64 v[24:25], v[112:113], s[22:23], v[104:105]
	;; [unrolled: 1-line block ×3, first 2 shown]
	v_add_f64 v[10:11], v[26:27], v[10:11]
	v_add_f64 v[8:9], v[12:13], v[8:9]
	v_fma_f64 v[12:13], v[100:101], s[40:41], v[122:123]
	v_add_f64 v[0:1], v[24:25], v[0:1]
	v_mul_f64 v[24:25], v[114:115], s[8:9]
	v_fma_f64 v[26:27], v[118:119], s[50:51], v[80:81]
	v_fma_f64 v[80:81], v[128:129], s[22:23], v[74:75]
	;; [unrolled: 1-line block ×3, first 2 shown]
	v_add_f64 v[10:11], v[70:71], v[10:11]
	v_fma_f64 v[70:71], v[116:117], s[34:35], v[72:73]
	v_add_f64 v[8:9], v[12:13], v[8:9]
	v_fma_f64 v[12:13], v[106:107], s[24:25], v[136:137]
	v_add_f64 v[0:1], v[68:69], v[0:1]
	v_add_f64 v[14:15], v[26:27], v[14:15]
	v_mul_f64 v[26:27], v[134:135], s[26:27]
	v_mul_f64 v[68:69], v[132:133], s[28:29]
	v_fma_f64 v[72:73], v[116:117], s[50:51], v[72:73]
	v_add_f64 v[2:3], v[80:81], v[62:63]
	v_fma_f64 v[80:81], v[128:129], s[46:47], v[82:83]
	v_fma_f64 v[82:83], v[128:129], s[16:17], v[82:83]
	v_add_f64 v[86:87], v[86:87], v[10:11]
	v_add_f64 v[70:71], v[70:71], v[18:19]
	;; [unrolled: 1-line block ×4, first 2 shown]
	v_fma_f64 v[12:13], v[110:111], s[18:19], -v[24:25]
	v_fma_f64 v[24:25], v[110:111], s[18:19], v[24:25]
	v_fma_f64 v[22:23], v[128:129], s[28:29], v[26:27]
	v_fma_f64 v[18:19], v[126:127], s[26:27], -v[68:69]
	v_add_f64 v[78:79], v[78:79], v[14:15]
	v_fma_f64 v[94:95], v[128:129], s[44:45], v[26:27]
	v_fma_f64 v[68:69], v[126:127], s[26:27], v[68:69]
	v_add_f64 v[72:73], v[72:73], v[0:1]
	v_add_f64 v[26:27], v[174:175], v[30:31]
	;; [unrolled: 1-line block ×5, first 2 shown]
	v_mul_lo_u16 v70, v255, 17
	v_add_f64 v[12:13], v[12:13], v[20:21]
	v_mul_f64 v[20:21], v[132:133], s[56:57]
	v_add_f64 v[8:9], v[24:25], v[8:9]
	v_fma_f64 v[24:25], v[108:109], s[30:31], -v[76:77]
	v_fma_f64 v[76:77], v[108:109], s[30:31], v[76:77]
	v_add_f64 v[14:15], v[22:23], v[16:17]
	v_add_f64 v[16:17], v[192:193], v[146:147]
	;; [unrolled: 1-line block ×4, first 2 shown]
	v_fma_f64 v[88:89], v[126:127], s[24:25], v[20:21]
	v_fma_f64 v[20:21], v[126:127], s[24:25], -v[20:21]
	v_add_f64 v[62:63], v[24:25], v[12:13]
	v_add_f64 v[76:77], v[76:77], v[8:9]
	;; [unrolled: 1-line block ×7, first 2 shown]
	v_and_b32_e32 v68, 0xffff, v70
	v_add_lshl_u32 v68, v206, v68, 4
	v_add_f64 v[0:1], v[88:89], v[64:65]
	v_add_f64 v[8:9], v[20:21], v[66:67]
	;; [unrolled: 1-line block ×7, first 2 shown]
	ds_write_b128 v68, v[4:7]
	ds_write_b128 v68, v[16:19] offset:16
	ds_write_b128 v68, v[20:23] offset:32
	;; [unrolled: 1-line block ×16, first 2 shown]
.LBB0_7:
	s_or_b32 exec_lo, exec_lo, s4
	v_add_lshl_u32 v204, v206, v255, 4
	s_waitcnt lgkmcnt(0)
	s_barrier
	buffer_gl0_inv
	v_cmp_gt_u16_e64 s0, 17, v255
	ds_read_b128 v[68:71], v204
	ds_read_b128 v[52:55], v204 offset:1632
	ds_read_b128 v[108:111], v204 offset:3536
	;; [unrolled: 1-line block ×11, first 2 shown]
                                        ; implicit-def: $vgpr128_vgpr129
	s_and_saveexec_b32 s1, s0
	s_cbranch_execz .LBB0_9
; %bb.8:
	ds_read_b128 v[44:47], v204 offset:3264
	ds_read_b128 v[48:51], v204 offset:6800
	;; [unrolled: 1-line block ×6, first 2 shown]
.LBB0_9:
	s_or_b32 exec_lo, exec_lo, s1
	v_and_b32_e32 v0, 0xff, v255
	v_add_nc_u32_e32 v1, 0xcc, v255
	v_mov_b32_e32 v2, 0xf0f1
	s_mov_b32 s8, 0xe8584caa
	s_mov_b32 s9, 0x3febb67a
	v_mul_lo_u16 v0, 0xf1, v0
	s_mov_b32 s5, 0xbfebb67a
	s_mov_b32 s4, s8
	v_lshrrev_b16 v4, 12, v0
	v_mul_u32_u24_sdwa v0, v1, v2 dst_sel:DWORD dst_unused:UNUSED_PAD src0_sel:WORD_0 src1_sel:DWORD
	v_add_nc_u16 v2, v255, 0x66
	v_mul_lo_u16 v3, v4, 17
	v_lshrrev_b32_e32 v0, 20, v0
	v_and_b32_e32 v5, 0xff, v2
	v_sub_nc_u16 v3, v255, v3
	v_mul_lo_u16 v0, v0, 17
	v_mul_lo_u16 v5, 0xf1, v5
	v_and_b32_e32 v6, 0xff, v3
	v_sub_nc_u16 v8, v1, v0
	v_lshrrev_b16 v5, 12, v5
	v_mad_u64_u32 v[0:1], null, 0x50, v6, s[2:3]
	v_mul_lo_u16 v3, 0x50, v8
	v_mul_lo_u16 v7, v5, 17
	v_and_b32_e32 v8, 0xffff, v8
	s_clause 0x1
	global_load_dwordx4 v[178:181], v[0:1], off offset:16
	global_load_dwordx4 v[174:177], v[0:1], off
	v_and_b32_e32 v3, 0xffff, v3
	v_sub_nc_u16 v7, v2, v7
	s_clause 0x1
	global_load_dwordx4 v[84:87], v[0:1], off offset:32
	global_load_dwordx4 v[182:185], v[0:1], off offset:48
	v_add_co_u32 v2, s1, s2, v3
	v_and_b32_e32 v9, 0xff, v7
	v_add_co_ci_u32_e64 v3, null, s3, 0, s1
	s_clause 0x2
	global_load_dwordx4 v[88:91], v[0:1], off offset:64
	global_load_dwordx4 v[22:25], v[2:3], off offset:16
	global_load_dwordx4 v[56:59], v[2:3], off
	v_mad_u64_u32 v[0:1], null, 0x50, v9, s[2:3]
	s_clause 0x7
	global_load_dwordx4 v[60:63], v[2:3], off offset:32
	global_load_dwordx4 v[26:29], v[2:3], off offset:48
	;; [unrolled: 1-line block ×3, first 2 shown]
	global_load_dwordx4 v[186:189], v[0:1], off
	global_load_dwordx4 v[194:197], v[0:1], off offset:16
	global_load_dwordx4 v[96:99], v[0:1], off offset:32
	;; [unrolled: 1-line block ×4, first 2 shown]
	v_mov_b32_e32 v0, 0x66
	v_mul_u32_u24_sdwa v1, v4, v0 dst_sel:DWORD dst_unused:UNUSED_PAD src0_sel:WORD_0 src1_sel:DWORD
	v_mul_u32_u24_sdwa v20, v5, v0 dst_sel:DWORD dst_unused:UNUSED_PAD src0_sel:WORD_0 src1_sel:DWORD
	v_add_nc_u32_e32 v21, v1, v6
	v_add_nc_u32_e32 v9, v20, v9
	s_waitcnt vmcnt(14) lgkmcnt(7)
	v_mul_f64 v[4:5], v[114:115], v[180:181]
	s_waitcnt vmcnt(13)
	v_mul_f64 v[0:1], v[110:111], v[176:177]
	v_mul_f64 v[2:3], v[108:109], v[176:177]
	;; [unrolled: 1-line block ×3, first 2 shown]
	s_waitcnt vmcnt(11) lgkmcnt(3)
	v_mul_f64 v[14:15], v[122:123], v[184:185]
	v_mul_f64 v[16:17], v[120:121], v[184:185]
	;; [unrolled: 1-line block ×4, first 2 shown]
	s_waitcnt vmcnt(10) lgkmcnt(1)
	v_mul_f64 v[18:19], v[126:127], v[90:91]
	s_waitcnt vmcnt(9)
	v_mul_f64 v[138:139], v[42:43], v[24:25]
	s_waitcnt vmcnt(8)
	;; [unrolled: 2-line block ×4, first 2 shown]
	v_mul_f64 v[146:147], v[34:35], v[28:29]
	s_waitcnt vmcnt(5) lgkmcnt(0)
	v_mul_f64 v[150:151], v[130:131], v[66:67]
	v_mul_f64 v[136:137], v[48:49], v[58:59]
	;; [unrolled: 1-line block ×6, first 2 shown]
	v_fma_f64 v[0:1], v[108:109], v[174:175], -v[0:1]
	buffer_store_dword v174, off, s[60:63], 0 offset:36 ; 4-byte Folded Spill
	buffer_store_dword v175, off, s[60:63], 0 offset:40 ; 4-byte Folded Spill
	buffer_store_dword v176, off, s[60:63], 0 offset:44 ; 4-byte Folded Spill
	buffer_store_dword v177, off, s[60:63], 0 offset:48 ; 4-byte Folded Spill
	v_fma_f64 v[4:5], v[112:113], v[178:179], -v[4:5]
	buffer_store_dword v178, off, s[60:63], 0 offset:52 ; 4-byte Folded Spill
	buffer_store_dword v179, off, s[60:63], 0 offset:56 ; 4-byte Folded Spill
	buffer_store_dword v180, off, s[60:63], 0 offset:60 ; 4-byte Folded Spill
	buffer_store_dword v181, off, s[60:63], 0 offset:64 ; 4-byte Folded Spill
	;; [unrolled: 5-line block ×3, first 2 shown]
	s_waitcnt vmcnt(4)
	v_mul_f64 v[154:155], v[74:75], v[188:189]
	s_waitcnt vmcnt(3)
	v_mul_f64 v[158:159], v[78:79], v[196:197]
	;; [unrolled: 2-line block ×3, first 2 shown]
	v_mul_f64 v[156:157], v[72:73], v[188:189]
	v_mul_f64 v[160:161], v[76:77], v[196:197]
	;; [unrolled: 1-line block ×3, first 2 shown]
	v_fma_f64 v[40:41], v[40:41], v[22:23], -v[138:139]
	v_fma_f64 v[48:49], v[48:49], v[56:57], -v[134:135]
	buffer_store_dword v56, off, s[60:63], 0 offset:364 ; 4-byte Folded Spill
	buffer_store_dword v57, off, s[60:63], 0 offset:368 ; 4-byte Folded Spill
	;; [unrolled: 1-line block ×8, first 2 shown]
	v_fma_f64 v[36:37], v[36:37], v[60:61], -v[142:143]
	buffer_store_dword v60, off, s[60:63], 0 offset:380 ; 4-byte Folded Spill
	buffer_store_dword v61, off, s[60:63], 0 offset:384 ; 4-byte Folded Spill
	;; [unrolled: 1-line block ×4, first 2 shown]
	v_fma_f64 v[32:33], v[32:33], v[26:27], -v[146:147]
	buffer_store_dword v26, off, s[60:63], 0 offset:348 ; 4-byte Folded Spill
	buffer_store_dword v27, off, s[60:63], 0 offset:352 ; 4-byte Folded Spill
	;; [unrolled: 1-line block ×4, first 2 shown]
	v_mul_f64 v[132:133], v[124:125], v[90:91]
	v_mul_f64 v[162:163], v[82:83], v[98:99]
	;; [unrolled: 1-line block ×3, first 2 shown]
	s_waitcnt vmcnt(0)
	v_mul_f64 v[170:171], v[106:107], v[102:103]
	v_mul_f64 v[172:173], v[104:105], v[102:103]
	v_fma_f64 v[10:11], v[116:117], v[84:85], -v[10:11]
	v_fma_f64 v[12:13], v[118:119], v[84:85], v[12:13]
	v_fma_f64 v[18:19], v[124:125], v[88:89], -v[18:19]
	v_fma_f64 v[72:73], v[72:73], v[186:187], -v[154:155]
	;; [unrolled: 1-line block ×4, first 2 shown]
	v_add_f64 v[116:117], v[4:5], v[14:15]
	v_add_f64 v[142:143], v[48:49], v[36:37]
	v_fma_f64 v[108:109], v[126:127], v[88:89], v[132:133]
	v_fma_f64 v[80:81], v[80:81], v[96:97], -v[162:163]
	v_fma_f64 v[82:83], v[82:83], v[96:97], v[164:165]
	v_fma_f64 v[104:105], v[104:105], v[100:101], -v[170:171]
	v_fma_f64 v[106:107], v[106:107], v[100:101], v[172:173]
	v_add_f64 v[132:133], v[40:41], v[32:33]
	v_add_f64 v[124:125], v[10:11], v[18:19]
	;; [unrolled: 1-line block ×5, first 2 shown]
	v_fma_f64 v[124:125], v[124:125], -0.5, v[0:1]
	v_fma_f64 v[2:3], v[110:111], v[174:175], v[2:3]
	v_fma_f64 v[110:111], v[128:129], v[64:65], -v[150:151]
	buffer_store_dword v64, off, s[60:63], 0 offset:396 ; 4-byte Folded Spill
	buffer_store_dword v65, off, s[60:63], 0 offset:400 ; 4-byte Folded Spill
	;; [unrolled: 1-line block ×16, first 2 shown]
	v_fma_f64 v[6:7], v[114:115], v[178:179], v[6:7]
	v_fma_f64 v[16:17], v[122:123], v[182:183], v[16:17]
	v_add_f64 v[114:115], v[68:69], v[4:5]
	v_add_f64 v[122:123], v[4:5], -v[14:15]
	v_add_f64 v[4:5], v[0:1], v[10:11]
	v_add_f64 v[150:151], v[52:53], v[76:77]
	v_add_f64 v[128:129], v[12:13], -v[108:109]
	v_fma_f64 v[50:51], v[50:51], v[56:57], v[136:137]
	v_fma_f64 v[42:43], v[42:43], v[22:23], v[140:141]
	v_add_f64 v[10:11], v[10:11], -v[18:19]
	v_fma_f64 v[38:39], v[38:39], v[60:61], v[144:145]
	v_fma_f64 v[68:69], v[116:117], -0.5, v[68:69]
	v_fma_f64 v[34:35], v[34:35], v[26:27], v[148:149]
	v_add_f64 v[148:149], v[80:81], v[104:105]
	v_add_f64 v[80:81], v[80:81], -v[104:105]
	v_add_f64 v[12:13], v[2:3], v[12:13]
	v_add_f64 v[140:141], v[36:37], v[110:111]
	v_add_f64 v[36:37], v[36:37], -v[110:111]
	v_fma_f64 v[126:127], v[126:127], -0.5, v[2:3]
	v_add_f64 v[120:121], v[70:71], v[6:7]
	v_add_f64 v[118:119], v[6:7], -v[16:17]
	v_add_f64 v[6:7], v[6:7], v[16:17]
	v_add_f64 v[14:15], v[114:115], v[14:15]
	;; [unrolled: 1-line block ×5, first 2 shown]
	v_add_f64 v[134:135], v[42:43], -v[34:35]
	v_add_f64 v[42:43], v[42:43], v[34:35]
	v_fma_f64 v[72:73], v[148:149], -0.5, v[72:73]
	v_add_f64 v[108:109], v[12:13], v[108:109]
	v_fma_f64 v[48:49], v[140:141], -0.5, v[48:49]
	v_fma_f64 v[114:115], v[10:11], s[8:9], v[126:127]
	v_add_f64 v[16:17], v[120:121], v[16:17]
	v_fma_f64 v[70:71], v[6:7], -0.5, v[70:71]
	v_add_f64 v[2:3], v[136:137], v[34:35]
	v_fma_f64 v[34:35], v[42:43], -0.5, v[46:47]
	v_fma_f64 v[42:43], v[10:11], s[4:5], v[126:127]
	v_fma_f64 v[46:47], v[128:129], s[8:9], v[124:125]
	v_add_f64 v[10:11], v[14:15], v[18:19]
	v_add_f64 v[14:15], v[14:15], -v[18:19]
	v_add_f64 v[12:13], v[16:17], v[108:109]
	v_add_f64 v[16:17], v[16:17], -v[108:109]
	v_fma_f64 v[120:121], v[122:123], s[4:5], v[70:71]
	v_fma_f64 v[70:71], v[122:123], s[8:9], v[70:71]
	v_mul_f64 v[116:117], v[46:47], s[4:5]
	v_fma_f64 v[112:113], v[130:131], v[64:65], v[152:153]
	v_fma_f64 v[74:75], v[74:75], v[186:187], v[156:157]
	;; [unrolled: 1-line block ×4, first 2 shown]
	v_add_f64 v[130:131], v[44:45], v[40:41]
	v_add_f64 v[160:161], v[82:83], -v[106:107]
	v_add_f64 v[152:153], v[76:77], v[92:93]
	v_add_f64 v[76:77], v[76:77], -v[92:93]
	v_add_f64 v[40:41], v[40:41], -v[32:33]
	v_add_f64 v[138:139], v[38:39], v[112:113]
	v_add_f64 v[144:145], v[38:39], -v[112:113]
	v_add_f64 v[38:39], v[50:51], v[38:39]
	;; [unrolled: 2-line block ×3, first 2 shown]
	v_add_f64 v[78:79], v[78:79], v[94:95]
	v_add_f64 v[82:83], v[74:75], v[82:83]
	v_fma_f64 v[74:75], v[146:147], -0.5, v[74:75]
	v_add_f64 v[0:1], v[130:131], v[32:33]
	v_fma_f64 v[32:33], v[132:133], -0.5, v[44:45]
	v_fma_f64 v[44:45], v[128:129], s[4:5], v[124:125]
	v_fma_f64 v[52:53], v[152:153], -0.5, v[52:53]
	v_fma_f64 v[140:141], v[40:41], s[8:9], v[34:35]
	;; [unrolled: 2-line block ×3, first 2 shown]
	v_add_f64 v[6:7], v[38:39], v[112:113]
	v_add_f64 v[38:39], v[150:151], v[92:93]
	v_fma_f64 v[48:49], v[144:145], s[8:9], v[48:49]
	v_fma_f64 v[54:55], v[78:79], -0.5, v[54:55]
	v_add_f64 v[78:79], v[158:159], v[104:105]
	v_fma_f64 v[104:105], v[160:161], s[4:5], v[72:73]
	v_fma_f64 v[72:73], v[160:161], s[8:9], v[72:73]
	;; [unrolled: 1-line block ×3, first 2 shown]
	v_mul_f64 v[112:113], v[44:45], -0.5
	v_fma_f64 v[134:135], v[134:135], s[4:5], v[32:33]
	v_fma_f64 v[138:139], v[40:41], s[4:5], v[34:35]
	;; [unrolled: 1-line block ×6, first 2 shown]
	v_add_f64 v[50:51], v[156:157], v[94:95]
	v_fma_f64 v[94:95], v[80:81], s[4:5], v[74:75]
	v_fma_f64 v[74:75], v[80:81], s[8:9], v[74:75]
	v_mul_f64 v[124:125], v[110:111], -0.5
	v_add_f64 v[80:81], v[82:83], v[106:107]
	v_fma_f64 v[82:83], v[118:119], s[8:9], v[68:69]
	v_fma_f64 v[68:69], v[118:119], s[4:5], v[68:69]
	v_mul_f64 v[106:107], v[42:43], s[8:9]
	v_mul_f64 v[118:119], v[114:115], -0.5
	v_mul_f64 v[126:127], v[48:49], s[4:5]
	v_mul_f64 v[130:131], v[104:105], -0.5
	v_mul_f64 v[132:133], v[72:73], s[4:5]
	v_fma_f64 v[112:113], v[114:115], s[8:9], v[112:113]
	v_fma_f64 v[114:115], v[42:43], 0.5, v[116:117]
	v_fma_f64 v[152:153], v[76:77], s[8:9], v[54:55]
	v_add_f64 v[116:117], v[0:1], -v[4:5]
	v_add_f64 v[32:33], v[38:39], v[78:79]
	v_mul_f64 v[122:123], v[92:93], s[8:9]
	v_mul_f64 v[128:129], v[36:37], -0.5
	v_mul_f64 v[108:109], v[94:95], s[8:9]
	v_mul_f64 v[136:137], v[74:75], -0.5
	v_fma_f64 v[150:151], v[36:37], s[8:9], v[124:125]
	v_add_f64 v[34:35], v[50:51], v[80:81]
	v_add_f64 v[36:37], v[38:39], -v[78:79]
	v_add_f64 v[38:39], v[50:51], -v[80:81]
	v_fma_f64 v[106:107], v[46:47], 0.5, v[106:107]
	v_fma_f64 v[142:143], v[44:45], s[4:5], v[118:119]
	v_fma_f64 v[92:93], v[92:93], 0.5, v[126:127]
	v_add_f64 v[118:119], v[2:3], -v[6:7]
	v_fma_f64 v[94:95], v[94:95], 0.5, v[132:133]
	v_add_f64 v[52:53], v[68:69], -v[112:113]
	v_add_f64 v[42:43], v[120:121], v[114:115]
	v_add_f64 v[50:51], v[120:121], -v[114:115]
	v_add_f64 v[44:45], v[68:69], v[112:113]
	v_fma_f64 v[148:149], v[48:49], 0.5, v[122:123]
	v_fma_f64 v[110:111], v[110:111], s[4:5], v[128:129]
	v_fma_f64 v[128:129], v[76:77], s[4:5], v[54:55]
	v_fma_f64 v[76:77], v[72:73], 0.5, v[108:109]
	v_fma_f64 v[108:109], v[74:75], s[8:9], v[130:131]
	v_fma_f64 v[104:105], v[104:105], s[4:5], v[136:137]
	v_add_f64 v[22:23], v[134:135], -v[150:151]
	v_add_f64 v[120:121], v[134:135], v[150:151]
	v_add_f64 v[40:41], v[82:83], v[106:107]
	v_add_f64 v[48:49], v[82:83], -v[106:107]
	v_add_f64 v[54:55], v[70:71], -v[142:143]
	v_add_f64 v[126:127], v[138:139], v[92:93]
	v_add_f64 v[58:59], v[138:139], -v[92:93]
	v_add_f64 v[46:47], v[70:71], v[142:143]
	v_add_f64 v[124:125], v[18:19], v[148:149]
	v_add_f64 v[24:25], v[140:141], -v[110:111]
	v_add_f64 v[122:123], v[140:141], v[110:111]
	v_add_f64 v[56:57], v[18:19], -v[148:149]
	v_add_f64 v[80:81], v[146:147], -v[108:109]
	;; [unrolled: 1-line block ×3, first 2 shown]
	v_add_f64 v[68:69], v[144:145], v[76:77]
	v_add_f64 v[70:71], v[128:129], v[94:95]
	;; [unrolled: 1-line block ×4, first 2 shown]
	v_add_f64 v[76:77], v[144:145], -v[76:77]
	v_add_f64 v[78:79], v[128:129], -v[94:95]
	v_add_lshl_u32 v18, v206, v21, 4
	buffer_store_dword v22, off, s[60:63], 0 offset:20 ; 4-byte Folded Spill
	buffer_store_dword v23, off, s[60:63], 0 offset:24 ; 4-byte Folded Spill
	;; [unrolled: 1-line block ×4, first 2 shown]
	s_load_dwordx4 s[4:7], s[6:7], 0x0
	buffer_store_dword v8, off, s[60:63], 0 offset:276 ; 4-byte Folded Spill
	v_add_lshl_u32 v8, v206, v9, 4
	s_waitcnt lgkmcnt(0)
	s_waitcnt_vscnt null, 0x0
	s_barrier
	buffer_gl0_inv
	ds_write_b128 v18, v[10:13]
	ds_write_b128 v18, v[14:17] offset:816
	ds_write_b128 v18, v[40:43] offset:272
	;; [unrolled: 1-line block ×4, first 2 shown]
	buffer_store_dword v18, off, s[60:63], 0 offset:292 ; 4-byte Folded Spill
	ds_write_b128 v18, v[52:55] offset:1360
	ds_write_b128 v8, v[32:35]
	ds_write_b128 v8, v[36:39] offset:816
	ds_write_b128 v8, v[68:71] offset:272
	;; [unrolled: 1-line block ×4, first 2 shown]
	buffer_store_dword v8, off, s[60:63], 0 offset:284 ; 4-byte Folded Spill
	ds_write_b128 v8, v[80:83] offset:1360
	s_and_saveexec_b32 s1, s0
	s_cbranch_execz .LBB0_11
; %bb.10:
	v_add_f64 v[0:1], v[0:1], v[4:5]
	buffer_load_dword v4, off, s[60:63], 0 offset:276 ; 4-byte Folded Reload
	v_add_f64 v[2:3], v[2:3], v[6:7]
	s_waitcnt vmcnt(0)
	v_add_lshl_u32 v4, v206, v4, 4
	ds_write_b128 v4, v[124:127] offset:19856
	ds_write_b128 v4, v[120:123] offset:20128
	;; [unrolled: 1-line block ×5, first 2 shown]
	s_clause 0x3
	buffer_load_dword v0, off, s[60:63], 0 offset:20
	buffer_load_dword v1, off, s[60:63], 0 offset:24
	;; [unrolled: 1-line block ×4, first 2 shown]
	s_waitcnt vmcnt(0)
	ds_write_b128 v4, v[0:3] offset:20944
.LBB0_11:
	s_or_b32 exec_lo, exec_lo, s1
	v_mad_u64_u32 v[104:105], null, 0xc0, v255, s[2:3]
	s_waitcnt lgkmcnt(0)
	s_waitcnt_vscnt null, 0x0
	s_barrier
	buffer_gl0_inv
	s_mov_b32 s23, 0xbfddbe06
	s_mov_b32 s22, 0x4267c47c
	;; [unrolled: 1-line block ×3, first 2 shown]
	s_clause 0x7
	global_load_dwordx4 v[92:95], v[104:105], off offset:1360
	global_load_dwordx4 v[44:47], v[104:105], off offset:1376
	global_load_dwordx4 v[40:43], v[104:105], off offset:1392
	global_load_dwordx4 v[36:39], v[104:105], off offset:1408
	global_load_dwordx4 v[32:35], v[104:105], off offset:1424
	global_load_dwordx4 v[28:31], v[104:105], off offset:1440
	global_load_dwordx4 v[24:27], v[104:105], off offset:1456
	global_load_dwordx4 v[20:23], v[104:105], off offset:1472
	ds_read_b128 v[0:3], v204 offset:1632
	ds_read_b128 v[4:7], v204 offset:3264
	;; [unrolled: 1-line block ×5, first 2 shown]
	s_mov_b32 s28, 0x42a4c3d2
	s_mov_b32 s30, 0x66966769
	;; [unrolled: 1-line block ×27, first 2 shown]
	s_waitcnt vmcnt(7) lgkmcnt(4)
	v_mul_f64 v[72:73], v[2:3], v[94:95]
	v_mul_f64 v[74:75], v[0:1], v[94:95]
	s_waitcnt vmcnt(6) lgkmcnt(3)
	v_mul_f64 v[76:77], v[6:7], v[46:47]
	v_mul_f64 v[78:79], v[4:5], v[46:47]
	;; [unrolled: 3-line block ×3, first 2 shown]
	v_fma_f64 v[0:1], v[0:1], v[92:93], -v[72:73]
	v_fma_f64 v[2:3], v[2:3], v[92:93], v[74:75]
	ds_read_b128 v[72:75], v204 offset:9792
	v_fma_f64 v[192:193], v[4:5], v[44:45], -v[76:77]
	buffer_store_dword v44, off, s[60:63], 0 offset:228 ; 4-byte Folded Spill
	buffer_store_dword v45, off, s[60:63], 0 offset:232 ; 4-byte Folded Spill
	;; [unrolled: 1-line block ×4, first 2 shown]
	v_fma_f64 v[200:201], v[8:9], v[40:41], -v[80:81]
	buffer_store_dword v40, off, s[60:63], 0 offset:164 ; 4-byte Folded Spill
	buffer_store_dword v41, off, s[60:63], 0 offset:168 ; 4-byte Folded Spill
	;; [unrolled: 1-line block ×4, first 2 shown]
	s_waitcnt vmcnt(4) lgkmcnt(2)
	v_mul_f64 v[4:5], v[14:15], v[38:39]
	s_waitcnt vmcnt(3) lgkmcnt(1)
	v_mul_f64 v[8:9], v[18:19], v[34:35]
	v_fma_f64 v[205:206], v[12:13], v[36:37], -v[4:5]
	v_fma_f64 v[209:210], v[16:17], v[32:33], -v[8:9]
	v_fma_f64 v[194:195], v[6:7], v[44:45], v[78:79]
	v_mul_f64 v[6:7], v[12:13], v[38:39]
	buffer_store_dword v36, off, s[60:63], 0 offset:148 ; 4-byte Folded Spill
	buffer_store_dword v37, off, s[60:63], 0 offset:152 ; 4-byte Folded Spill
	;; [unrolled: 1-line block ×4, first 2 shown]
	v_fma_f64 v[202:203], v[10:11], v[40:41], v[82:83]
	v_mul_f64 v[10:11], v[16:17], v[34:35]
	buffer_store_dword v32, off, s[60:63], 0 offset:132 ; 4-byte Folded Spill
	buffer_store_dword v33, off, s[60:63], 0 offset:136 ; 4-byte Folded Spill
	buffer_store_dword v34, off, s[60:63], 0 offset:140 ; 4-byte Folded Spill
	buffer_store_dword v35, off, s[60:63], 0 offset:144 ; 4-byte Folded Spill
	s_waitcnt vmcnt(2) lgkmcnt(0)
	v_mul_f64 v[12:13], v[74:75], v[30:31]
	v_fma_f64 v[213:214], v[72:73], v[28:29], -v[12:13]
	v_fma_f64 v[207:208], v[14:15], v[36:37], v[6:7]
	ds_read_b128 v[4:7], v204 offset:11424
	v_mul_f64 v[14:15], v[72:73], v[30:31]
	v_fma_f64 v[211:212], v[18:19], v[32:33], v[10:11]
	buffer_store_dword v28, off, s[60:63], 0 offset:116 ; 4-byte Folded Spill
	buffer_store_dword v29, off, s[60:63], 0 offset:120 ; 4-byte Folded Spill
	;; [unrolled: 1-line block ×4, first 2 shown]
	s_waitcnt vmcnt(1) lgkmcnt(0)
	v_mul_f64 v[8:9], v[6:7], v[26:27]
	v_mul_f64 v[10:11], v[4:5], v[26:27]
	v_fma_f64 v[196:197], v[4:5], v[24:25], -v[8:9]
	buffer_store_dword v24, off, s[60:63], 0 offset:100 ; 4-byte Folded Spill
	buffer_store_dword v25, off, s[60:63], 0 offset:104 ; 4-byte Folded Spill
	;; [unrolled: 1-line block ×4, first 2 shown]
	v_add_f64 v[251:252], v[213:214], v[196:197]
	v_fma_f64 v[215:216], v[74:75], v[28:29], v[14:15]
	v_fma_f64 v[198:199], v[6:7], v[24:25], v[10:11]
	ds_read_b128 v[4:7], v204 offset:13056
	s_waitcnt vmcnt(0) lgkmcnt(0)
	v_mul_f64 v[8:9], v[6:7], v[22:23]
	v_fma_f64 v[188:189], v[4:5], v[20:21], -v[8:9]
	v_mul_f64 v[4:5], v[4:5], v[22:23]
	buffer_store_dword v20, off, s[60:63], 0 offset:84 ; 4-byte Folded Spill
	buffer_store_dword v21, off, s[60:63], 0 offset:88 ; 4-byte Folded Spill
	buffer_store_dword v22, off, s[60:63], 0 offset:92 ; 4-byte Folded Spill
	buffer_store_dword v23, off, s[60:63], 0 offset:96 ; 4-byte Folded Spill
	global_load_dwordx4 v[10:13], v[104:105], off offset:1488
	v_add_f64 v[243:244], v[209:210], -v[188:189]
	v_mul_f64 v[247:248], v[243:244], s[24:25]
	v_fma_f64 v[190:191], v[6:7], v[20:21], v[4:5]
	ds_read_b128 v[4:7], v204 offset:14688
	v_add_f64 v[20:21], v[215:216], v[198:199]
	s_waitcnt vmcnt(0) lgkmcnt(0)
	v_mul_f64 v[8:9], v[6:7], v[12:13]
	v_add_f64 v[241:242], v[211:212], -v[190:191]
	v_fma_f64 v[184:185], v[4:5], v[10:11], -v[8:9]
	v_mul_f64 v[4:5], v[4:5], v[12:13]
	buffer_store_dword v10, off, s[60:63], 0 offset:244 ; 4-byte Folded Spill
	buffer_store_dword v11, off, s[60:63], 0 offset:248 ; 4-byte Folded Spill
	buffer_store_dword v12, off, s[60:63], 0 offset:252 ; 4-byte Folded Spill
	buffer_store_dword v13, off, s[60:63], 0 offset:256 ; 4-byte Folded Spill
	v_mul_f64 v[245:246], v[241:242], s[24:25]
	v_add_f64 v[227:228], v[205:206], -v[184:185]
	v_mul_f64 v[239:240], v[227:228], s[20:21]
	v_fma_f64 v[186:187], v[6:7], v[10:11], v[4:5]
	global_load_dwordx4 v[10:13], v[104:105], off offset:1504
	ds_read_b128 v[4:7], v204 offset:16320
	v_add_f64 v[225:226], v[207:208], -v[186:187]
	v_mul_f64 v[237:238], v[225:226], s[20:21]
	s_waitcnt vmcnt(0) lgkmcnt(0)
	v_mul_f64 v[8:9], v[6:7], v[12:13]
	v_fma_f64 v[180:181], v[4:5], v[10:11], -v[8:9]
	v_mul_f64 v[4:5], v[4:5], v[12:13]
	buffer_store_dword v10, off, s[60:63], 0 offset:260 ; 4-byte Folded Spill
	buffer_store_dword v11, off, s[60:63], 0 offset:264 ; 4-byte Folded Spill
	;; [unrolled: 1-line block ×4, first 2 shown]
	v_fma_f64 v[182:183], v[6:7], v[10:11], v[4:5]
	global_load_dwordx4 v[10:13], v[104:105], off offset:1520
	ds_read_b128 v[4:7], v204 offset:17952
	s_waitcnt vmcnt(0) lgkmcnt(0)
	v_mul_f64 v[8:9], v[6:7], v[12:13]
	v_fma_f64 v[148:149], v[4:5], v[10:11], -v[8:9]
	v_mul_f64 v[4:5], v[4:5], v[12:13]
	buffer_store_dword v10, off, s[60:63], 0 offset:300 ; 4-byte Folded Spill
	buffer_store_dword v11, off, s[60:63], 0 offset:304 ; 4-byte Folded Spill
	;; [unrolled: 1-line block ×4, first 2 shown]
	v_fma_f64 v[150:151], v[6:7], v[10:11], v[4:5]
	global_load_dwordx4 v[10:13], v[104:105], off offset:1536
	ds_read_b128 v[4:7], v204 offset:19584
	s_waitcnt vmcnt(0) lgkmcnt(0)
	v_mul_f64 v[8:9], v[6:7], v[12:13]
	v_fma_f64 v[217:218], v[4:5], v[10:11], -v[8:9]
	v_mul_f64 v[4:5], v[4:5], v[12:13]
	buffer_store_dword v10, off, s[60:63], 0 offset:316 ; 4-byte Folded Spill
	buffer_store_dword v11, off, s[60:63], 0 offset:320 ; 4-byte Folded Spill
	buffer_store_dword v12, off, s[60:63], 0 offset:324 ; 4-byte Folded Spill
	buffer_store_dword v13, off, s[60:63], 0 offset:328 ; 4-byte Folded Spill
	buffer_store_dword v255, off, s[60:63], 0 offset:12 ; 4-byte Folded Spill
	v_add_f64 v[16:17], v[0:1], v[217:218]
	v_fma_f64 v[219:220], v[6:7], v[10:11], v[4:5]
	v_add_f64 v[4:5], v[2:3], -v[219:220]
	v_add_f64 v[138:139], v[2:3], v[219:220]
	v_mul_f64 v[6:7], v[4:5], s[22:23]
	v_mul_f64 v[8:9], v[4:5], s[28:29]
	;; [unrolled: 1-line block ×6, first 2 shown]
	v_fma_f64 v[18:19], v[16:17], s[16:17], -v[6:7]
	v_fma_f64 v[108:109], v[16:17], s[16:17], v[6:7]
	v_add_f64 v[6:7], v[0:1], -v[217:218]
	v_fma_f64 v[110:111], v[16:17], s[10:11], -v[8:9]
	v_fma_f64 v[128:129], v[16:17], s[10:11], v[8:9]
	v_fma_f64 v[130:131], v[16:17], s[2:3], -v[10:11]
	v_fma_f64 v[10:11], v[16:17], s[2:3], v[10:11]
	;; [unrolled: 2-line block ×5, first 2 shown]
	v_mul_f64 v[8:9], v[6:7], s[22:23]
	v_mul_f64 v[16:17], v[6:7], s[28:29]
	;; [unrolled: 1-line block ×6, first 2 shown]
	s_mov_b32 s23, 0x3fddbe06
	v_fma_f64 v[140:141], v[138:139], s[16:17], v[8:9]
	v_fma_f64 v[144:145], v[138:139], s[10:11], v[16:17]
	v_fma_f64 v[16:17], v[138:139], s[10:11], -v[16:17]
	v_fma_f64 v[142:143], v[138:139], s[16:17], -v[8:9]
	v_fma_f64 v[152:153], v[138:139], s[2:3], v[132:133]
	v_fma_f64 v[174:175], v[138:139], s[26:27], v[6:7]
	v_fma_f64 v[176:177], v[138:139], s[26:27], -v[6:7]
	ds_read_b128 v[6:9], v204
	v_fma_f64 v[158:159], v[138:139], s[2:3], -v[132:133]
	v_fma_f64 v[160:161], v[138:139], s[8:9], v[134:135]
	v_fma_f64 v[166:167], v[138:139], s[8:9], -v[134:135]
	v_fma_f64 v[170:171], v[138:139], s[18:19], v[136:137]
	v_fma_f64 v[172:173], v[138:139], s[18:19], -v[136:137]
	s_waitcnt lgkmcnt(0)
	v_add_f64 v[178:179], v[8:9], v[140:141]
	v_add_f64 v[140:141], v[8:9], v[16:17]
	v_add_f64 v[16:17], v[194:195], -v[150:151]
	v_add_f64 v[24:25], v[6:7], v[0:1]
	v_add_f64 v[26:27], v[8:9], v[2:3]
	;; [unrolled: 1-line block ×25, first 2 shown]
	v_mul_f64 v[168:169], v[16:17], s[28:29]
	v_add_f64 v[172:173], v[202:203], -v[182:183]
	v_add_f64 v[176:177], v[200:201], v[180:181]
	v_fma_f64 v[10:11], v[8:9], s[10:11], -v[168:169]
	v_mul_f64 v[229:230], v[172:173], s[30:31]
	v_add_f64 v[128:129], v[10:11], v[18:19]
	v_add_f64 v[18:19], v[192:193], -v[148:149]
	v_add_f64 v[10:11], v[194:195], v[150:151]
	v_fma_f64 v[174:175], v[176:177], s[2:3], -v[229:230]
	v_mul_f64 v[170:171], v[18:19], s[28:29]
	v_add_f64 v[128:129], v[174:175], v[128:129]
	v_add_f64 v[174:175], v[200:201], -v[180:181]
	v_fma_f64 v[130:131], v[10:11], s[10:11], v[170:171]
	v_mul_f64 v[231:232], v[174:175], s[30:31]
	v_add_f64 v[130:131], v[130:131], v[178:179]
	v_add_f64 v[178:179], v[202:203], v[182:183]
	v_fma_f64 v[221:222], v[178:179], s[2:3], v[231:232]
	v_add_f64 v[130:131], v[221:222], v[130:131]
	v_add_f64 v[221:222], v[205:206], v[184:185]
	v_fma_f64 v[223:224], v[221:222], s[8:9], -v[237:238]
	v_add_f64 v[128:129], v[223:224], v[128:129]
	v_add_f64 v[223:224], v[207:208], v[186:187]
	v_fma_f64 v[233:234], v[223:224], s[8:9], v[239:240]
	v_add_f64 v[130:131], v[233:234], v[130:131]
	v_add_f64 v[233:234], v[209:210], v[188:189]
	v_fma_f64 v[235:236], v[233:234], s[18:19], -v[245:246]
	v_add_f64 v[128:129], v[235:236], v[128:129]
	v_add_f64 v[235:236], v[211:212], v[190:191]
	v_fma_f64 v[249:250], v[235:236], s[18:19], v[247:248]
	v_add_f64 v[130:131], v[249:250], v[130:131]
	v_add_f64 v[249:250], v[215:216], -v[198:199]
	v_mul_f64 v[253:254], v[249:250], s[34:35]
	v_fma_f64 v[0:1], v[251:252], s[26:27], -v[253:254]
	v_add_f64 v[128:129], v[0:1], v[128:129]
	v_add_f64 v[0:1], v[213:214], -v[196:197]
	v_mul_f64 v[22:23], v[0:1], s[34:35]
	v_fma_f64 v[2:3], v[20:21], s[26:27], v[22:23]
	v_fma_f64 v[22:23], v[20:21], s[26:27], -v[22:23]
	v_add_f64 v[130:131], v[2:3], v[130:131]
	v_fma_f64 v[2:3], v[8:9], s[10:11], v[168:169]
	v_mul_f64 v[168:169], v[18:19], s[20:21]
	v_add_f64 v[2:3], v[2:3], v[134:135]
	v_fma_f64 v[134:135], v[10:11], s[10:11], -v[170:171]
	v_mul_f64 v[170:171], v[172:173], s[34:35]
	v_add_f64 v[132:133], v[134:135], v[132:133]
	v_fma_f64 v[134:135], v[176:177], s[2:3], v[229:230]
	v_mul_f64 v[229:230], v[174:175], s[34:35]
	v_add_f64 v[2:3], v[134:135], v[2:3]
	v_fma_f64 v[134:135], v[178:179], s[2:3], -v[231:232]
	v_mul_f64 v[231:232], v[225:226], s[38:39]
	;; [unrolled: 6-line block ×4, first 2 shown]
	v_add_f64 v[134:135], v[134:135], v[132:133]
	v_fma_f64 v[132:133], v[251:252], s[26:27], v[253:254]
	v_add_f64 v[134:135], v[22:23], v[134:135]
	v_add_f64 v[132:133], v[132:133], v[2:3]
	v_mul_f64 v[2:3], v[16:17], s[20:21]
	v_fma_f64 v[22:23], v[8:9], s[8:9], -v[2:3]
	v_fma_f64 v[2:3], v[8:9], s[8:9], v[2:3]
	v_add_f64 v[22:23], v[22:23], v[138:139]
	v_fma_f64 v[138:139], v[10:11], s[8:9], v[168:169]
	v_add_f64 v[2:3], v[2:3], v[142:143]
	v_fma_f64 v[142:143], v[10:11], s[8:9], -v[168:169]
	v_mul_f64 v[168:169], v[18:19], s[34:35]
	v_add_f64 v[136:137], v[138:139], v[136:137]
	v_fma_f64 v[138:139], v[176:177], s[26:27], -v[170:171]
	v_add_f64 v[140:141], v[142:143], v[140:141]
	v_fma_f64 v[142:143], v[176:177], s[26:27], v[170:171]
	v_mul_f64 v[170:171], v[172:173], s[40:41]
	v_add_f64 v[22:23], v[138:139], v[22:23]
	v_fma_f64 v[138:139], v[178:179], s[26:27], v[229:230]
	v_add_f64 v[2:3], v[142:143], v[2:3]
	v_fma_f64 v[142:143], v[178:179], s[26:27], -v[229:230]
	v_mul_f64 v[229:230], v[174:175], s[40:41]
	v_add_f64 v[136:137], v[138:139], v[136:137]
	v_fma_f64 v[138:139], v[221:222], s[18:19], -v[231:232]
	v_add_f64 v[140:141], v[142:143], v[140:141]
	v_fma_f64 v[142:143], v[221:222], s[18:19], v[231:232]
	v_mul_f64 v[231:232], v[225:226], s[22:23]
	;; [unrolled: 10-line block ×4, first 2 shown]
	v_add_f64 v[136:137], v[136:137], v[22:23]
	v_mul_f64 v[22:23], v[0:1], s[22:23]
	v_add_f64 v[140:141], v[140:141], v[2:3]
	v_mul_f64 v[2:3], v[16:17], s[34:35]
	s_mov_b32 s35, 0x3fcea1e5
	v_fma_f64 v[253:254], v[20:21], s[16:17], v[22:23]
	v_fma_f64 v[22:23], v[20:21], s[16:17], -v[22:23]
	v_add_f64 v[138:139], v[253:254], v[138:139]
	v_add_f64 v[142:143], v[22:23], v[142:143]
	v_fma_f64 v[22:23], v[8:9], s[26:27], -v[2:3]
	v_fma_f64 v[2:3], v[8:9], s[26:27], v[2:3]
	v_add_f64 v[22:23], v[22:23], v[146:147]
	v_fma_f64 v[146:147], v[10:11], s[26:27], v[168:169]
	v_add_f64 v[2:3], v[2:3], v[154:155]
	v_fma_f64 v[154:155], v[10:11], s[26:27], -v[168:169]
	v_mul_f64 v[168:169], v[18:19], s[38:39]
	v_add_f64 v[144:145], v[146:147], v[144:145]
	v_fma_f64 v[146:147], v[176:177], s[8:9], -v[170:171]
	v_add_f64 v[152:153], v[154:155], v[152:153]
	v_fma_f64 v[154:155], v[176:177], s[8:9], v[170:171]
	v_mul_f64 v[170:171], v[172:173], s[22:23]
	v_add_f64 v[22:23], v[146:147], v[22:23]
	v_fma_f64 v[146:147], v[178:179], s[8:9], v[229:230]
	v_add_f64 v[2:3], v[154:155], v[2:3]
	v_fma_f64 v[154:155], v[178:179], s[8:9], -v[229:230]
	v_mul_f64 v[229:230], v[174:175], s[22:23]
	v_add_f64 v[144:145], v[146:147], v[144:145]
	v_fma_f64 v[146:147], v[221:222], s[16:17], -v[231:232]
	v_add_f64 v[152:153], v[154:155], v[152:153]
	v_fma_f64 v[154:155], v[221:222], s[16:17], v[231:232]
	v_mul_f64 v[231:232], v[225:226], s[30:31]
	v_add_f64 v[22:23], v[146:147], v[22:23]
	v_fma_f64 v[146:147], v[223:224], s[16:17], v[237:238]
	v_add_f64 v[2:3], v[154:155], v[2:3]
	v_fma_f64 v[154:155], v[223:224], s[16:17], -v[237:238]
	v_mul_f64 v[237:238], v[227:228], s[30:31]
	s_mov_b32 s31, 0x3fea55e2
	s_mov_b32 s30, s28
	v_add_f64 v[144:145], v[146:147], v[144:145]
	v_fma_f64 v[146:147], v[233:234], s[10:11], -v[239:240]
	v_add_f64 v[152:153], v[154:155], v[152:153]
	v_fma_f64 v[154:155], v[233:234], s[10:11], v[239:240]
	v_mul_f64 v[239:240], v[241:242], s[34:35]
	v_add_f64 v[22:23], v[146:147], v[22:23]
	v_fma_f64 v[146:147], v[235:236], s[10:11], v[245:246]
	v_add_f64 v[2:3], v[154:155], v[2:3]
	v_fma_f64 v[154:155], v[235:236], s[10:11], -v[245:246]
	v_mul_f64 v[245:246], v[243:244], s[34:35]
	v_add_f64 v[146:147], v[146:147], v[144:145]
	v_fma_f64 v[144:145], v[251:252], s[18:19], -v[247:248]
	v_add_f64 v[154:155], v[154:155], v[152:153]
	v_fma_f64 v[152:153], v[251:252], s[18:19], v[247:248]
	v_mul_f64 v[247:248], v[249:250], s[30:31]
	v_add_f64 v[144:145], v[144:145], v[22:23]
	v_mul_f64 v[22:23], v[0:1], s[24:25]
	v_add_f64 v[152:153], v[152:153], v[2:3]
	v_mul_f64 v[2:3], v[16:17], s[38:39]
	v_fma_f64 v[253:254], v[20:21], s[18:19], v[22:23]
	v_fma_f64 v[22:23], v[20:21], s[18:19], -v[22:23]
	v_add_f64 v[146:147], v[253:254], v[146:147]
	v_add_f64 v[154:155], v[22:23], v[154:155]
	v_fma_f64 v[22:23], v[8:9], s[18:19], -v[2:3]
	v_fma_f64 v[2:3], v[8:9], s[18:19], v[2:3]
	v_add_f64 v[22:23], v[22:23], v[158:159]
	v_fma_f64 v[158:159], v[10:11], s[18:19], v[168:169]
	v_add_f64 v[2:3], v[2:3], v[162:163]
	v_fma_f64 v[162:163], v[10:11], s[18:19], -v[168:169]
	v_mul_f64 v[168:169], v[18:19], s[36:37]
	v_add_f64 v[156:157], v[158:159], v[156:157]
	v_fma_f64 v[158:159], v[176:177], s[16:17], -v[170:171]
	v_add_f64 v[160:161], v[162:163], v[160:161]
	v_fma_f64 v[162:163], v[176:177], s[16:17], v[170:171]
	v_mul_f64 v[170:171], v[172:173], s[28:29]
	v_add_f64 v[22:23], v[158:159], v[22:23]
	v_fma_f64 v[158:159], v[178:179], s[16:17], v[229:230]
	v_add_f64 v[2:3], v[162:163], v[2:3]
	v_fma_f64 v[162:163], v[178:179], s[16:17], -v[229:230]
	v_mul_f64 v[229:230], v[174:175], s[28:29]
	v_add_f64 v[156:157], v[158:159], v[156:157]
	v_fma_f64 v[158:159], v[221:222], s[2:3], -v[231:232]
	v_add_f64 v[160:161], v[162:163], v[160:161]
	v_fma_f64 v[162:163], v[221:222], s[2:3], v[231:232]
	v_mul_f64 v[231:232], v[225:226], s[34:35]
	;; [unrolled: 10-line block ×4, first 2 shown]
	v_add_f64 v[156:157], v[156:157], v[22:23]
	v_mul_f64 v[22:23], v[0:1], s[30:31]
	v_add_f64 v[160:161], v[160:161], v[2:3]
	v_mul_f64 v[2:3], v[16:17], s[36:37]
	v_fma_f64 v[253:254], v[20:21], s[10:11], v[22:23]
	v_fma_f64 v[22:23], v[20:21], s[10:11], -v[22:23]
	v_add_f64 v[158:159], v[253:254], v[158:159]
	v_add_f64 v[162:163], v[22:23], v[162:163]
	v_fma_f64 v[22:23], v[8:9], s[2:3], -v[2:3]
	v_fma_f64 v[2:3], v[8:9], s[2:3], v[2:3]
	v_add_f64 v[22:23], v[22:23], v[166:167]
	v_add_f64 v[2:3], v[2:3], v[110:111]
	v_fma_f64 v[110:111], v[10:11], s[2:3], -v[168:169]
	v_fma_f64 v[166:167], v[10:11], s[2:3], v[168:169]
	v_add_f64 v[108:109], v[110:111], v[108:109]
	v_fma_f64 v[110:111], v[176:177], s[10:11], v[170:171]
	v_add_f64 v[164:165], v[166:167], v[164:165]
	v_fma_f64 v[166:167], v[176:177], s[10:11], -v[170:171]
	v_add_f64 v[2:3], v[110:111], v[2:3]
	v_fma_f64 v[110:111], v[178:179], s[10:11], -v[229:230]
	v_add_f64 v[22:23], v[166:167], v[22:23]
	v_fma_f64 v[166:167], v[178:179], s[10:11], v[229:230]
	v_mul_f64 v[229:230], v[249:250], s[36:37]
	v_add_f64 v[108:109], v[110:111], v[108:109]
	v_fma_f64 v[110:111], v[221:222], s[26:27], v[231:232]
	v_add_f64 v[164:165], v[166:167], v[164:165]
	v_fma_f64 v[166:167], v[221:222], s[26:27], -v[231:232]
	v_add_f64 v[2:3], v[110:111], v[2:3]
	v_fma_f64 v[110:111], v[223:224], s[26:27], -v[237:238]
	v_add_f64 v[22:23], v[166:167], v[22:23]
	v_fma_f64 v[166:167], v[223:224], s[26:27], v[237:238]
	v_add_f64 v[108:109], v[110:111], v[108:109]
	v_fma_f64 v[110:111], v[233:234], s[16:17], v[239:240]
	v_add_f64 v[164:165], v[166:167], v[164:165]
	v_fma_f64 v[166:167], v[233:234], s[16:17], -v[239:240]
	v_add_f64 v[2:3], v[110:111], v[2:3]
	v_fma_f64 v[110:111], v[235:236], s[16:17], -v[245:246]
	v_add_f64 v[22:23], v[166:167], v[22:23]
	v_fma_f64 v[166:167], v[235:236], s[16:17], v[245:246]
	v_add_f64 v[108:109], v[110:111], v[108:109]
	v_fma_f64 v[110:111], v[251:252], s[8:9], v[247:248]
	v_add_f64 v[166:167], v[166:167], v[164:165]
	v_fma_f64 v[164:165], v[251:252], s[8:9], -v[247:248]
	v_add_f64 v[168:169], v[110:111], v[2:3]
	v_mul_f64 v[2:3], v[16:17], s[22:23]
	v_add_f64 v[164:165], v[164:165], v[22:23]
	v_mul_f64 v[22:23], v[0:1], s[20:21]
	v_mul_f64 v[0:1], v[0:1], s[36:37]
	v_fma_f64 v[16:17], v[8:9], s[16:17], -v[2:3]
	v_fma_f64 v[2:3], v[8:9], s[16:17], v[2:3]
	v_fma_f64 v[253:254], v[20:21], s[8:9], v[22:23]
	v_fma_f64 v[22:23], v[20:21], s[8:9], -v[22:23]
	v_add_f64 v[14:15], v[16:17], v[14:15]
	v_mul_f64 v[16:17], v[18:19], s[22:23]
	v_add_f64 v[2:3], v[2:3], v[6:7]
	v_add_f64 v[170:171], v[22:23], v[108:109]
	;; [unrolled: 1-line block ×3, first 2 shown]
	v_fma_f64 v[18:19], v[10:11], s[16:17], v[16:17]
	v_fma_f64 v[8:9], v[10:11], s[16:17], -v[16:17]
	v_add_f64 v[12:13], v[18:19], v[12:13]
	v_mul_f64 v[18:19], v[172:173], s[24:25]
	v_add_f64 v[4:5], v[8:9], v[4:5]
	v_fma_f64 v[22:23], v[176:177], s[18:19], -v[18:19]
	v_fma_f64 v[10:11], v[176:177], s[18:19], v[18:19]
	v_add_f64 v[14:15], v[22:23], v[14:15]
	v_mul_f64 v[22:23], v[174:175], s[24:25]
	v_add_f64 v[2:3], v[10:11], v[2:3]
	v_fma_f64 v[108:109], v[178:179], s[18:19], v[22:23]
	v_add_f64 v[12:13], v[108:109], v[12:13]
	v_mul_f64 v[108:109], v[225:226], s[30:31]
	v_mul_f64 v[225:226], v[241:242], s[20:21]
	v_fma_f64 v[110:111], v[221:222], s[10:11], -v[108:109]
	v_fma_f64 v[6:7], v[221:222], s[10:11], v[108:109]
	v_fma_f64 v[10:11], v[233:234], s[8:9], v[225:226]
	v_add_f64 v[14:15], v[110:111], v[14:15]
	v_mul_f64 v[110:111], v[227:228], s[30:31]
	v_mul_f64 v[227:228], v[243:244], s[20:21]
	v_add_f64 v[2:3], v[6:7], v[2:3]
	v_fma_f64 v[6:7], v[251:252], s[2:3], v[229:230]
	v_fma_f64 v[172:173], v[223:224], s[10:11], v[110:111]
	v_fma_f64 v[8:9], v[223:224], s[10:11], -v[110:111]
	v_add_f64 v[2:3], v[10:11], v[2:3]
	v_add_f64 v[12:13], v[172:173], v[12:13]
	v_fma_f64 v[172:173], v[233:234], s[8:9], -v[225:226]
	v_add_f64 v[176:177], v[6:7], v[2:3]
	v_add_f64 v[2:3], v[26:27], v[194:195]
	;; [unrolled: 1-line block ×3, first 2 shown]
	v_fma_f64 v[172:173], v[235:236], s[8:9], v[227:228]
	v_add_f64 v[2:3], v[2:3], v[202:203]
	v_add_f64 v[12:13], v[172:173], v[12:13]
	v_fma_f64 v[172:173], v[251:252], s[2:3], -v[229:230]
	v_add_f64 v[2:3], v[2:3], v[207:208]
	v_add_f64 v[172:173], v[172:173], v[14:15]
	v_fma_f64 v[14:15], v[20:21], s[2:3], v[0:1]
	v_fma_f64 v[0:1], v[20:21], s[2:3], -v[0:1]
	v_add_f64 v[2:3], v[2:3], v[211:212]
	v_add_f64 v[174:175], v[14:15], v[12:13]
	v_fma_f64 v[12:13], v[178:179], s[18:19], -v[22:23]
	v_add_f64 v[2:3], v[2:3], v[215:216]
	v_add_f64 v[4:5], v[12:13], v[4:5]
	;; [unrolled: 3-line block ×3, first 2 shown]
	v_add_f64 v[2:3], v[2:3], v[190:191]
	v_add_f64 v[4:5], v[12:13], v[4:5]
	;; [unrolled: 1-line block ×18, first 2 shown]
	buffer_load_dword v0, off, s[60:63], 0 offset:8 ; 4-byte Folded Reload
	s_waitcnt vmcnt(0)
	v_lshl_add_u32 v255, v255, 4, v0
	ds_write_b128 v255, v[128:131] offset:1632
	ds_write_b128 v255, v[136:139] offset:3264
	;; [unrolled: 1-line block ×12, first 2 shown]
	ds_write_b128 v255, v[148:151]
	s_waitcnt lgkmcnt(0)
	s_waitcnt_vscnt null, 0x0
	s_barrier
	buffer_gl0_inv
	s_and_saveexec_b32 s2, vcc_lo
	s_cbranch_execz .LBB0_13
; %bb.12:
	buffer_load_dword v0, off, s[60:63], 0 offset:12 ; 4-byte Folded Reload
	s_waitcnt vmcnt(0)
	v_lshlrev_b32_e32 v0, 4, v0
	v_add_co_u32 v0, s1, s12, v0
	v_add_co_ci_u32_e64 v1, null, s13, 0, s1
	v_add_co_u32 v2, s1, 0x5000, v0
	v_add_co_ci_u32_e64 v3, s1, 0, v1, s1
	v_add_co_u32 v6, s1, 0x52e0, v0
	v_add_co_ci_u32_e64 v7, s1, 0, v1, s1
	global_load_dwordx4 v[2:5], v[2:3], off offset:736
	v_add_co_u32 v10, s1, 0x5800, v0
	global_load_dwordx4 v[6:9], v[6:7], off offset:1248
	v_add_co_ci_u32_e64 v11, s1, 0, v1, s1
	v_add_co_u32 v18, s1, 0x6000, v0
	v_add_co_ci_u32_e64 v19, s1, 0, v1, s1
	s_clause 0x2
	global_load_dwordx4 v[10:13], v[10:11], off offset:1184
	global_load_dwordx4 v[14:17], v[18:19], off offset:384
	;; [unrolled: 1-line block ×3, first 2 shown]
	v_add_co_u32 v18, s1, 0x6800, v0
	v_add_co_ci_u32_e64 v19, s1, 0, v1, s1
	global_load_dwordx4 v[205:208], v[18:19], off offset:832
	v_add_co_u32 v18, s1, 0x7000, v0
	v_add_co_ci_u32_e64 v19, s1, 0, v1, s1
	s_clause 0x1
	global_load_dwordx4 v[209:212], v[18:19], off offset:32
	global_load_dwordx4 v[213:216], v[18:19], off offset:1280
	v_add_co_u32 v18, s1, 0x7800, v0
	v_add_co_ci_u32_e64 v19, s1, 0, v1, s1
	ds_read_b128 v[180:183], v255
	ds_read_b128 v[184:187], v255 offset:1248
	ds_read_b128 v[188:191], v255 offset:2496
	ds_read_b128 v[192:195], v255 offset:3744
	s_clause 0x1
	global_load_dwordx4 v[217:220], v[18:19], off offset:480
	global_load_dwordx4 v[221:224], v[18:19], off offset:1728
	v_add_co_u32 v20, s1, 0x8000, v0
	v_add_co_ci_u32_e64 v21, s1, 0, v1, s1
	ds_read_b128 v[239:242], v255 offset:19968
	ds_read_b128 v[227:230], v255 offset:17472
	;; [unrolled: 1-line block ×3, first 2 shown]
	s_waitcnt vmcnt(9) lgkmcnt(6)
	v_mul_f64 v[18:19], v[182:183], v[4:5]
	v_mul_f64 v[4:5], v[180:181], v[4:5]
	s_waitcnt vmcnt(8) lgkmcnt(5)
	v_mul_f64 v[22:23], v[186:187], v[8:9]
	v_mul_f64 v[8:9], v[184:185], v[8:9]
	v_fma_f64 v[180:181], v[180:181], v[2:3], -v[18:19]
	s_waitcnt vmcnt(7) lgkmcnt(4)
	v_mul_f64 v[18:19], v[190:191], v[12:13]
	v_fma_f64 v[182:183], v[182:183], v[2:3], v[4:5]
	v_fma_f64 v[184:185], v[184:185], v[6:7], -v[22:23]
	v_fma_f64 v[186:187], v[186:187], v[6:7], v[8:9]
	v_mul_f64 v[6:7], v[188:189], v[12:13]
	s_waitcnt vmcnt(6) lgkmcnt(3)
	v_mul_f64 v[22:23], v[194:195], v[16:17]
	v_mul_f64 v[16:17], v[192:193], v[16:17]
	global_load_dwordx4 v[2:5], v[20:21], off offset:928
	v_add_co_u32 v20, s1, 0x8800, v0
	v_add_co_ci_u32_e64 v21, s1, 0, v1, s1
	v_fma_f64 v[188:189], v[188:189], v[10:11], -v[18:19]
	v_fma_f64 v[190:191], v[190:191], v[10:11], v[6:7]
	ds_read_b128 v[6:9], v255 offset:4992
	v_fma_f64 v[192:193], v[192:193], v[14:15], -v[22:23]
	v_fma_f64 v[194:195], v[194:195], v[14:15], v[16:17]
	ds_read_b128 v[14:17], v255 offset:6240
	global_load_dwordx4 v[10:13], v[20:21], off offset:128
	s_waitcnt vmcnt(7) lgkmcnt(1)
	v_mul_f64 v[18:19], v[8:9], v[110:111]
	v_mul_f64 v[22:23], v[6:7], v[110:111]
	v_fma_f64 v[196:197], v[6:7], v[108:109], -v[18:19]
	v_fma_f64 v[198:199], v[8:9], v[108:109], v[22:23]
	global_load_dwordx4 v[6:9], v[20:21], off offset:1376
	s_waitcnt vmcnt(7) lgkmcnt(0)
	v_mul_f64 v[18:19], v[16:17], v[207:208]
	v_mul_f64 v[20:21], v[14:15], v[207:208]
	ds_read_b128 v[108:111], v255 offset:8736
	v_add_co_u32 v22, s1, 0x9000, v0
	v_add_co_ci_u32_e64 v23, s1, 0, v1, s1
	v_fma_f64 v[200:201], v[14:15], v[205:206], -v[18:19]
	v_fma_f64 v[202:203], v[16:17], v[205:206], v[20:21]
	ds_read_b128 v[14:17], v255 offset:7488
	ds_read_b128 v[205:208], v255 offset:9984
	s_waitcnt vmcnt(6) lgkmcnt(1)
	v_mul_f64 v[18:19], v[16:17], v[211:212]
	v_mul_f64 v[20:21], v[14:15], v[211:212]
	v_fma_f64 v[14:15], v[14:15], v[209:210], -v[18:19]
	v_fma_f64 v[16:17], v[16:17], v[209:210], v[20:21]
	ds_read_b128 v[209:212], v255 offset:11232
	s_waitcnt vmcnt(5)
	v_mul_f64 v[18:19], v[110:111], v[215:216]
	v_mul_f64 v[20:21], v[108:109], v[215:216]
	v_fma_f64 v[108:109], v[108:109], v[213:214], -v[18:19]
	v_fma_f64 v[110:111], v[110:111], v[213:214], v[20:21]
	s_waitcnt vmcnt(4) lgkmcnt(1)
	v_mul_f64 v[18:19], v[207:208], v[219:220]
	v_mul_f64 v[20:21], v[205:206], v[219:220]
	ds_read_b128 v[213:216], v255 offset:12480
	v_fma_f64 v[205:206], v[205:206], v[217:218], -v[18:19]
	v_fma_f64 v[207:208], v[207:208], v[217:218], v[20:21]
	global_load_dwordx4 v[217:220], v[22:23], off offset:576
	s_waitcnt vmcnt(4) lgkmcnt(1)
	v_mul_f64 v[18:19], v[211:212], v[223:224]
	v_mul_f64 v[20:21], v[209:210], v[223:224]
	v_fma_f64 v[209:210], v[209:210], v[221:222], -v[18:19]
	v_fma_f64 v[211:212], v[211:212], v[221:222], v[20:21]
	ds_read_b128 v[221:224], v255 offset:16224
	s_waitcnt vmcnt(3) lgkmcnt(1)
	v_mul_f64 v[18:19], v[215:216], v[4:5]
	v_mul_f64 v[4:5], v[213:214], v[4:5]
	v_fma_f64 v[213:214], v[213:214], v[2:3], -v[18:19]
	v_fma_f64 v[215:216], v[215:216], v[2:3], v[4:5]
	ds_read_b128 v[2:5], v255 offset:13728
	;; [unrolled: 6-line block ×3, first 2 shown]
	s_waitcnt vmcnt(1) lgkmcnt(0)
	v_mul_f64 v[18:19], v[12:13], v[8:9]
	v_mul_f64 v[20:21], v[10:11], v[8:9]
	v_fma_f64 v[8:9], v[10:11], v[6:7], -v[18:19]
	v_fma_f64 v[10:11], v[12:13], v[6:7], v[20:21]
	s_waitcnt vmcnt(0)
	v_mul_f64 v[6:7], v[223:224], v[219:220]
	v_mul_f64 v[12:13], v[221:222], v[219:220]
	v_fma_f64 v[219:220], v[221:222], v[217:218], -v[6:7]
	v_fma_f64 v[221:222], v[223:224], v[217:218], v[12:13]
	global_load_dwordx4 v[223:226], v[22:23], off offset:1824
	s_waitcnt vmcnt(0)
	v_mul_f64 v[6:7], v[229:230], v[225:226]
	v_mul_f64 v[12:13], v[227:228], v[225:226]
	v_fma_f64 v[225:226], v[227:228], v[223:224], -v[6:7]
	v_add_co_u32 v6, s1, 0x9800, v0
	v_add_co_ci_u32_e64 v7, s1, 0, v1, s1
	v_fma_f64 v[227:228], v[229:230], v[223:224], v[12:13]
	v_add_co_u32 v0, s1, 0xa000, v0
	global_load_dwordx4 v[229:232], v[6:7], off offset:1024
	v_add_co_ci_u32_e64 v1, s1, 0, v1, s1
	s_waitcnt vmcnt(0)
	v_mul_f64 v[6:7], v[235:236], v[231:232]
	v_mul_f64 v[12:13], v[233:234], v[231:232]
	v_fma_f64 v[231:232], v[233:234], v[229:230], -v[6:7]
	v_fma_f64 v[233:234], v[235:236], v[229:230], v[12:13]
	global_load_dwordx4 v[235:238], v[0:1], off offset:224
	s_waitcnt vmcnt(0)
	v_mul_f64 v[0:1], v[241:242], v[237:238]
	v_mul_f64 v[6:7], v[239:240], v[237:238]
	v_fma_f64 v[237:238], v[239:240], v[235:236], -v[0:1]
	v_fma_f64 v[239:240], v[241:242], v[235:236], v[6:7]
	ds_write_b128 v255, v[180:183]
	ds_write_b128 v255, v[184:187] offset:1248
	ds_write_b128 v255, v[188:191] offset:2496
	;; [unrolled: 1-line block ×16, first 2 shown]
.LBB0_13:
	s_or_b32 exec_lo, exec_lo, s2
	s_waitcnt lgkmcnt(0)
	s_barrier
	buffer_gl0_inv
	s_and_saveexec_b32 s1, vcc_lo
	s_cbranch_execz .LBB0_15
; %bb.14:
	ds_read_b128 v[148:151], v255
	ds_read_b128 v[128:131], v255 offset:1248
	ds_read_b128 v[136:139], v255 offset:2496
	;; [unrolled: 1-line block ×16, first 2 shown]
.LBB0_15:
	s_or_b32 exec_lo, exec_lo, s1
	s_waitcnt lgkmcnt(0)
	v_add_f64 v[52:53], v[130:131], -v[58:59]
	s_mov_b32 s2, 0x5d8e7cdc
	s_mov_b32 s3, 0xbfd71e95
	v_add_f64 v[44:45], v[138:139], -v[118:119]
	s_mov_b32 s16, 0x2a9d6da3
	s_mov_b32 s17, 0xbfe58eea
	v_add_f64 v[80:81], v[130:131], v[58:59]
	s_mov_b32 s8, 0x370991
	s_mov_b32 s9, 0x3fedd6d0
	v_add_f64 v[225:226], v[128:129], v[56:57]
	v_add_f64 v[243:244], v[128:129], -v[56:57]
	v_add_f64 v[223:224], v[138:139], v[118:119]
	s_mov_b32 s10, 0x75d4884
	s_mov_b32 s11, 0x3fe7a5f6
	v_add_f64 v[200:201], v[136:137], v[116:117]
	v_add_f64 v[46:47], v[146:147], -v[122:123]
	v_add_f64 v[227:228], v[136:137], -v[116:117]
	v_add_f64 v[239:240], v[146:147], v[122:123]
	s_mov_b32 s20, 0x7c9e640b
	s_mov_b32 s18, 0x2b2883cd
	;; [unrolled: 1-line block ×4, first 2 shown]
	v_mul_f64 v[0:1], v[52:53], s[2:3]
	v_add_f64 v[207:208], v[144:145], v[120:121]
	v_add_f64 v[50:51], v[158:159], -v[126:127]
	v_mul_f64 v[4:5], v[44:45], s[16:17]
	v_add_f64 v[219:220], v[144:145], -v[120:121]
	v_add_f64 v[247:248], v[158:159], v[126:127]
	v_mul_f64 v[38:39], v[80:81], s[8:9]
	s_mov_b32 s22, 0xeb564b22
	s_mov_b32 s24, 0x3259b75e
	;; [unrolled: 1-line block ×4, first 2 shown]
	v_mul_f64 v[26:27], v[223:224], s[10:11]
	v_add_f64 v[217:218], v[156:157], v[124:125]
	v_add_f64 v[235:236], v[156:157], -v[124:125]
	v_add_f64 v[62:63], v[166:167], -v[134:135]
	v_mul_f64 v[28:29], v[46:47], s[20:21]
	s_mov_b32 s28, 0x923c349f
	v_mul_f64 v[32:33], v[239:240], s[18:19]
	s_mov_b32 s29, 0xbfeec746
	v_add_f64 v[249:250], v[164:165], v[132:133]
	s_mov_b32 s26, 0xc61f0d01
	s_mov_b32 s27, 0xbfd183b1
	buffer_store_dword v0, off, s[60:63], 0 offset:692 ; 4-byte Folded Spill
	buffer_store_dword v1, off, s[60:63], 0 offset:696 ; 4-byte Folded Spill
	;; [unrolled: 1-line block ×4, first 2 shown]
	v_mul_f64 v[30:31], v[50:51], s[22:23]
	v_mul_f64 v[34:35], v[247:248], s[24:25]
	v_fma_f64 v[2:3], v[243:244], s[2:3], v[38:39]
	v_add_f64 v[209:210], v[164:165], -v[132:133]
	v_add_f64 v[110:111], v[174:175], -v[142:143]
	s_mov_b32 s34, 0x6c9a05f6
	s_mov_b32 s35, 0xbfe9895b
	v_fma_f64 v[6:7], v[227:228], s[16:17], v[26:27]
	v_add_f64 v[253:254], v[172:173], v[140:141]
	s_mov_b32 s30, 0x6ed5f1bb
	v_mul_f64 v[40:41], v[62:63], s[28:29]
	v_fma_f64 v[8:9], v[207:208], s[18:19], -v[28:29]
	s_mov_b32 s31, 0xbfe348c8
	v_add_f64 v[202:203], v[172:173], -v[140:141]
	v_add_f64 v[64:65], v[178:179], -v[154:155]
	s_mov_b32 s44, 0x4363dd80
	s_mov_b32 s45, 0x3fe0d888
	s_mov_b32 s39, 0xbfe0d888
	s_mov_b32 s38, s44
	v_add_f64 v[237:238], v[176:177], v[152:153]
	s_mov_b32 s36, 0x910ea3b9
	s_mov_b32 s37, 0xbfeb34fa
	v_add_f64 v[108:109], v[176:177], -v[152:153]
	v_add_f64 v[66:67], v[170:171], -v[162:163]
	v_add_f64 v[2:3], v[150:151], v[2:3]
	s_mov_b32 s42, 0xacd6c6b4
	v_mul_f64 v[42:43], v[110:111], s[34:35]
	s_mov_b32 s43, 0xbfc7851a
	v_add_f64 v[233:234], v[168:169], v[160:161]
	v_add_f64 v[213:214], v[170:171], v[162:163]
	s_mov_b32 s40, 0x7faef3
	s_mov_b32 s41, 0xbfef7484
	v_add_f64 v[241:242], v[168:169], -v[160:161]
	v_mul_f64 v[221:222], v[44:45], s[22:23]
	v_mul_f64 v[231:232], v[223:224], s[24:25]
	;; [unrolled: 1-line block ×8, first 2 shown]
	s_mov_b32 s49, 0x3feec746
	s_mov_b32 s48, s28
	;; [unrolled: 1-line block ×3, first 2 shown]
	v_mul_f64 v[76:77], v[110:111], s[48:49]
	v_mul_f64 v[68:69], v[66:67], s[42:43]
	v_add_f64 v[2:3], v[6:7], v[2:3]
	v_fma_f64 v[6:7], v[217:218], s[24:25], -v[30:31]
	v_mul_f64 v[74:75], v[64:65], s[46:47]
	s_mov_b32 s51, 0x3fd71e95
	s_mov_b32 s50, s2
	v_mul_f64 v[72:73], v[213:214], s[40:41]
	v_mul_f64 v[82:83], v[66:67], s[50:51]
	;; [unrolled: 1-line block ×3, first 2 shown]
	s_mov_b32 s55, 0x3fc7851a
	s_mov_b32 s54, s42
	;; [unrolled: 1-line block ×4, first 2 shown]
	v_mul_f64 v[251:252], v[64:65], s[22:23]
	v_mul_f64 v[245:246], v[66:67], s[38:39]
	;; [unrolled: 1-line block ×3, first 2 shown]
	s_mov_b32 s57, 0x3fe9895b
	s_mov_b32 s56, s34
	v_mul_f64 v[18:19], v[223:224], s[36:37]
	s_mov_b32 s59, 0x3fefdd0d
	s_mov_b32 s58, s22
	v_fma_f64 v[0:1], v[225:226], s[8:9], -v[0:1]
	v_fma_f64 v[4:5], v[200:201], s[10:11], -v[4:5]
	v_add_f64 v[0:1], v[148:149], v[0:1]
	v_add_f64 v[0:1], v[4:5], v[0:1]
	v_fma_f64 v[4:5], v[219:220], s[20:21], v[32:33]
	v_add_f64 v[0:1], v[8:9], v[0:1]
	v_add_f64 v[2:3], v[4:5], v[2:3]
	v_fma_f64 v[4:5], v[235:236], s[22:23], v[34:35]
	v_add_f64 v[0:1], v[6:7], v[0:1]
	v_add_f64 v[2:3], v[4:5], v[2:3]
	v_fma_f64 v[4:5], v[249:250], s[26:27], -v[40:41]
	v_add_f64 v[4:5], v[4:5], v[0:1]
	v_add_f64 v[0:1], v[166:167], v[134:135]
	v_mul_f64 v[48:49], v[0:1], s[26:27]
	v_mul_f64 v[182:183], v[0:1], s[36:37]
	v_fma_f64 v[6:7], v[209:210], s[28:29], v[48:49]
	v_add_f64 v[6:7], v[6:7], v[2:3]
	v_fma_f64 v[2:3], v[253:254], s[30:31], -v[42:43]
	v_add_f64 v[4:5], v[2:3], v[4:5]
	v_add_f64 v[2:3], v[174:175], v[142:143]
	v_mul_f64 v[60:61], v[2:3], s[30:31]
	v_mul_f64 v[78:79], v[2:3], s[26:27]
	v_fma_f64 v[8:9], v[202:203], s[34:35], v[60:61]
	v_add_f64 v[6:7], v[8:9], v[6:7]
	v_fma_f64 v[8:9], v[237:238], s[36:37], -v[54:55]
	v_add_f64 v[8:9], v[8:9], v[4:5]
	v_add_f64 v[4:5], v[178:179], v[154:155]
	v_mul_f64 v[70:71], v[4:5], s[36:37]
	v_mul_f64 v[215:216], v[4:5], s[18:19]
	v_fma_f64 v[10:11], v[108:109], s[38:39], v[70:71]
	v_add_f64 v[6:7], v[10:11], v[6:7]
	v_fma_f64 v[10:11], v[233:234], s[40:41], -v[68:69]
	v_add_f64 v[104:105], v[10:11], v[8:9]
	v_fma_f64 v[8:9], v[241:242], s[42:43], v[72:73]
	v_fma_f64 v[10:11], v[227:228], s[22:23], v[231:232]
	v_add_f64 v[106:107], v[8:9], v[6:7]
	v_mul_f64 v[6:7], v[52:53], s[16:17]
	v_fma_f64 v[8:9], v[200:201], s[24:25], -v[221:222]
	buffer_store_dword v6, off, s[60:63], 0 offset:580 ; 4-byte Folded Spill
	buffer_store_dword v7, off, s[60:63], 0 offset:584 ; 4-byte Folded Spill
	v_fma_f64 v[6:7], v[225:226], s[10:11], -v[6:7]
	v_add_f64 v[6:7], v[148:149], v[6:7]
	v_add_f64 v[6:7], v[8:9], v[6:7]
	v_mul_f64 v[8:9], v[80:81], s[10:11]
	buffer_store_dword v8, off, s[60:63], 0 offset:596 ; 4-byte Folded Spill
	buffer_store_dword v9, off, s[60:63], 0 offset:600 ; 4-byte Folded Spill
	v_fma_f64 v[8:9], v[243:244], s[16:17], v[8:9]
	v_add_f64 v[8:9], v[150:151], v[8:9]
	v_add_f64 v[8:9], v[10:11], v[8:9]
	v_fma_f64 v[10:11], v[207:208], s[30:31], -v[211:212]
	v_add_f64 v[6:7], v[10:11], v[6:7]
	v_fma_f64 v[10:11], v[219:220], s[34:35], v[229:230]
	v_add_f64 v[8:9], v[10:11], v[8:9]
	v_fma_f64 v[10:11], v[217:218], s[40:41], -v[112:113]
	v_add_f64 v[6:7], v[10:11], v[6:7]
	v_fma_f64 v[10:11], v[235:236], s[42:43], v[205:206]
	v_add_f64 v[8:9], v[10:11], v[8:9]
	v_fma_f64 v[10:11], v[249:250], s[36:37], -v[180:181]
	v_add_f64 v[6:7], v[10:11], v[6:7]
	v_fma_f64 v[10:11], v[209:210], s[44:45], v[182:183]
	v_add_f64 v[8:9], v[10:11], v[8:9]
	v_fma_f64 v[10:11], v[253:254], s[26:27], -v[76:77]
	v_add_f64 v[6:7], v[10:11], v[6:7]
	v_fma_f64 v[10:11], v[202:203], s[48:49], v[78:79]
	v_add_f64 v[8:9], v[10:11], v[8:9]
	v_fma_f64 v[10:11], v[237:238], s[18:19], -v[74:75]
	v_add_f64 v[6:7], v[10:11], v[6:7]
	v_fma_f64 v[10:11], v[108:109], s[46:47], v[215:216]
	v_add_f64 v[8:9], v[10:11], v[8:9]
	v_fma_f64 v[10:11], v[233:234], s[8:9], -v[82:83]
	v_add_f64 v[184:185], v[10:11], v[6:7]
	v_fma_f64 v[6:7], v[241:242], s[50:51], v[114:115]
	v_mul_f64 v[10:11], v[223:224], s[30:31]
	v_add_f64 v[186:187], v[6:7], v[8:9]
	v_mul_f64 v[8:9], v[44:45], s[34:35]
	buffer_store_dword v8, off, s[60:63], 0 offset:460 ; 4-byte Folded Spill
	buffer_store_dword v9, off, s[60:63], 0 offset:464 ; 4-byte Folded Spill
	;; [unrolled: 1-line block ×4, first 2 shown]
	v_mul_f64 v[6:7], v[52:53], s[20:21]
	v_mov_b32_e32 v25, v7
	v_mov_b32_e32 v24, v6
	v_fma_f64 v[6:7], v[225:226], s[18:19], -v[6:7]
	v_add_f64 v[6:7], v[148:149], v[6:7]
	v_fma_f64 v[8:9], v[200:201], s[30:31], -v[8:9]
	v_fma_f64 v[10:11], v[227:228], s[34:35], v[10:11]
	v_add_f64 v[6:7], v[8:9], v[6:7]
	v_mul_f64 v[8:9], v[80:81], s[18:19]
	v_mov_b32_e32 v37, v9
	v_mov_b32_e32 v36, v8
	v_fma_f64 v[8:9], v[243:244], s[20:21], v[8:9]
	v_add_f64 v[8:9], v[150:151], v[8:9]
	v_add_f64 v[8:9], v[10:11], v[8:9]
	v_mul_f64 v[10:11], v[46:47], s[54:55]
	buffer_store_dword v10, off, s[60:63], 0 offset:468 ; 4-byte Folded Spill
	buffer_store_dword v11, off, s[60:63], 0 offset:472 ; 4-byte Folded Spill
	v_fma_f64 v[10:11], v[207:208], s[40:41], -v[10:11]
	v_add_f64 v[6:7], v[10:11], v[6:7]
	v_mul_f64 v[10:11], v[239:240], s[40:41]
	buffer_store_dword v10, off, s[60:63], 0 offset:484 ; 4-byte Folded Spill
	buffer_store_dword v11, off, s[60:63], 0 offset:488 ; 4-byte Folded Spill
	v_fma_f64 v[10:11], v[219:220], s[54:55], v[10:11]
	v_add_f64 v[8:9], v[10:11], v[8:9]
	v_mul_f64 v[10:11], v[50:51], s[48:49]
	buffer_store_dword v10, off, s[60:63], 0 offset:452 ; 4-byte Folded Spill
	buffer_store_dword v11, off, s[60:63], 0 offset:456 ; 4-byte Folded Spill
	v_fma_f64 v[10:11], v[217:218], s[26:27], -v[10:11]
	v_add_f64 v[6:7], v[10:11], v[6:7]
	v_mul_f64 v[10:11], v[247:248], s[26:27]
	buffer_store_dword v10, off, s[60:63], 0 offset:492 ; 4-byte Folded Spill
	buffer_store_dword v11, off, s[60:63], 0 offset:496 ; 4-byte Folded Spill
	v_fma_f64 v[10:11], v[235:236], s[48:49], v[10:11]
	;; [unrolled: 10-line block ×4, first 2 shown]
	v_add_f64 v[8:9], v[10:11], v[8:9]
	v_fma_f64 v[10:11], v[237:238], s[24:25], -v[251:252]
	v_add_f64 v[6:7], v[10:11], v[6:7]
	v_mul_f64 v[10:11], v[4:5], s[24:25]
	buffer_store_dword v10, off, s[60:63], 0 offset:412 ; 4-byte Folded Spill
	buffer_store_dword v11, off, s[60:63], 0 offset:416 ; 4-byte Folded Spill
	v_fma_f64 v[10:11], v[108:109], s[22:23], v[10:11]
	v_add_f64 v[8:9], v[10:11], v[8:9]
	v_fma_f64 v[10:11], v[233:234], s[36:37], -v[245:246]
	v_add_f64 v[188:189], v[10:11], v[6:7]
	v_mul_f64 v[6:7], v[213:214], s[36:37]
	buffer_store_dword v6, off, s[60:63], 0 offset:436 ; 4-byte Folded Spill
	buffer_store_dword v7, off, s[60:63], 0 offset:440 ; 4-byte Folded Spill
	v_mul_f64 v[10:11], v[44:45], s[42:43]
	buffer_store_dword v10, off, s[60:63], 0 offset:604 ; 4-byte Folded Spill
	buffer_store_dword v11, off, s[60:63], 0 offset:608 ; 4-byte Folded Spill
	;; [unrolled: 1-line block ×4, first 2 shown]
	v_fma_f64 v[6:7], v[241:242], s[38:39], v[6:7]
	v_add_f64 v[190:191], v[6:7], v[8:9]
	v_mul_f64 v[8:9], v[52:53], s[22:23]
	v_fma_f64 v[10:11], v[200:201], s[40:41], -v[10:11]
	v_fma_f64 v[14:15], v[227:228], s[42:43], v[14:15]
	v_fma_f64 v[6:7], v[225:226], s[24:25], -v[8:9]
	v_add_f64 v[6:7], v[148:149], v[6:7]
	v_add_f64 v[6:7], v[10:11], v[6:7]
	v_mul_f64 v[10:11], v[80:81], s[24:25]
	v_fma_f64 v[12:13], v[243:244], s[22:23], v[10:11]
	v_add_f64 v[12:13], v[150:151], v[12:13]
	v_add_f64 v[12:13], v[14:15], v[12:13]
	v_mul_f64 v[14:15], v[46:47], s[48:49]
	buffer_store_dword v14, off, s[60:63], 0 offset:612 ; 4-byte Folded Spill
	buffer_store_dword v15, off, s[60:63], 0 offset:616 ; 4-byte Folded Spill
	v_fma_f64 v[14:15], v[207:208], s[26:27], -v[14:15]
	v_add_f64 v[6:7], v[14:15], v[6:7]
	v_mul_f64 v[14:15], v[239:240], s[26:27]
	buffer_store_dword v14, off, s[60:63], 0 offset:636 ; 4-byte Folded Spill
	buffer_store_dword v15, off, s[60:63], 0 offset:640 ; 4-byte Folded Spill
	v_fma_f64 v[14:15], v[219:220], s[48:49], v[14:15]
	v_add_f64 v[12:13], v[14:15], v[12:13]
	v_mul_f64 v[14:15], v[50:51], s[50:51]
	buffer_store_dword v14, off, s[60:63], 0 offset:628 ; 4-byte Folded Spill
	buffer_store_dword v15, off, s[60:63], 0 offset:632 ; 4-byte Folded Spill
	v_fma_f64 v[14:15], v[217:218], s[8:9], -v[14:15]
	v_add_f64 v[6:7], v[14:15], v[6:7]
	v_mul_f64 v[14:15], v[247:248], s[8:9]
	buffer_store_dword v14, off, s[60:63], 0 offset:644 ; 4-byte Folded Spill
	buffer_store_dword v15, off, s[60:63], 0 offset:648 ; 4-byte Folded Spill
	v_fma_f64 v[14:15], v[235:236], s[50:51], v[14:15]
	;; [unrolled: 10-line block ×5, first 2 shown]
	v_add_f64 v[12:13], v[14:15], v[12:13]
	v_mul_f64 v[14:15], v[66:67], s[52:53]
	buffer_store_dword v14, off, s[60:63], 0 offset:508 ; 4-byte Folded Spill
	buffer_store_dword v15, off, s[60:63], 0 offset:512 ; 4-byte Folded Spill
	v_fma_f64 v[14:15], v[233:234], s[10:11], -v[14:15]
	v_add_f64 v[196:197], v[14:15], v[6:7]
	v_mul_f64 v[6:7], v[213:214], s[10:11]
	buffer_store_dword v6, off, s[60:63], 0 offset:516 ; 4-byte Folded Spill
	buffer_store_dword v7, off, s[60:63], 0 offset:520 ; 4-byte Folded Spill
	v_mul_f64 v[14:15], v[44:45], s[44:45]
	buffer_store_dword v14, off, s[60:63], 0 offset:660 ; 4-byte Folded Spill
	buffer_store_dword v15, off, s[60:63], 0 offset:664 ; 4-byte Folded Spill
	;; [unrolled: 1-line block ×4, first 2 shown]
	v_fma_f64 v[6:7], v[241:242], s[52:53], v[6:7]
	v_add_f64 v[198:199], v[6:7], v[12:13]
	v_mul_f64 v[12:13], v[52:53], s[28:29]
	v_fma_f64 v[14:15], v[200:201], s[36:37], -v[14:15]
	v_fma_f64 v[18:19], v[227:228], s[44:45], v[18:19]
	v_fma_f64 v[6:7], v[225:226], s[26:27], -v[12:13]
	v_add_f64 v[6:7], v[148:149], v[6:7]
	v_add_f64 v[6:7], v[14:15], v[6:7]
	v_mul_f64 v[14:15], v[80:81], s[26:27]
	v_fma_f64 v[16:17], v[243:244], s[28:29], v[14:15]
	v_add_f64 v[16:17], v[150:151], v[16:17]
	v_add_f64 v[16:17], v[18:19], v[16:17]
	v_mul_f64 v[18:19], v[46:47], s[52:53]
	buffer_store_dword v18, off, s[60:63], 0 offset:668 ; 4-byte Folded Spill
	buffer_store_dword v19, off, s[60:63], 0 offset:672 ; 4-byte Folded Spill
	v_fma_f64 v[18:19], v[207:208], s[10:11], -v[18:19]
	v_add_f64 v[6:7], v[18:19], v[6:7]
	v_mul_f64 v[18:19], v[239:240], s[10:11]
	buffer_store_dword v18, off, s[60:63], 0 offset:708 ; 4-byte Folded Spill
	buffer_store_dword v19, off, s[60:63], 0 offset:712 ; 4-byte Folded Spill
	v_fma_f64 v[18:19], v[219:220], s[52:53], v[18:19]
	v_add_f64 v[18:19], v[18:19], v[16:17]
	v_mul_f64 v[16:17], v[50:51], s[20:21]
	buffer_store_dword v16, off, s[60:63], 0 offset:684 ; 4-byte Folded Spill
	buffer_store_dword v17, off, s[60:63], 0 offset:688 ; 4-byte Folded Spill
	v_fma_f64 v[16:17], v[217:218], s[18:19], -v[16:17]
	v_add_f64 v[6:7], v[16:17], v[6:7]
	v_mul_f64 v[16:17], v[247:248], s[18:19]
	buffer_store_dword v16, off, s[60:63], 0 offset:724 ; 4-byte Folded Spill
	buffer_store_dword v17, off, s[60:63], 0 offset:728 ; 4-byte Folded Spill
	v_fma_f64 v[20:21], v[235:236], s[20:21], v[16:17]
	v_mul_f64 v[16:17], v[62:63], s[42:43]
	buffer_store_dword v16, off, s[60:63], 0 offset:716 ; 4-byte Folded Spill
	buffer_store_dword v17, off, s[60:63], 0 offset:720 ; 4-byte Folded Spill
	v_add_f64 v[20:21], v[20:21], v[18:19]
	v_fma_f64 v[18:19], v[249:250], s[40:41], -v[16:17]
	v_mul_f64 v[16:17], v[0:1], s[40:41]
	buffer_store_dword v16, off, s[60:63], 0 offset:732 ; 4-byte Folded Spill
	buffer_store_dword v17, off, s[60:63], 0 offset:736 ; 4-byte Folded Spill
	v_add_f64 v[6:7], v[18:19], v[6:7]
	v_mul_f64 v[18:19], v[64:65], s[2:3]
	v_fma_f64 v[22:23], v[209:210], s[42:43], v[16:17]
	v_mul_f64 v[16:17], v[110:111], s[58:59]
	buffer_store_dword v16, off, s[60:63], 0 offset:564 ; 4-byte Folded Spill
	buffer_store_dword v17, off, s[60:63], 0 offset:568 ; 4-byte Folded Spill
	v_add_f64 v[20:21], v[22:23], v[20:21]
	v_fma_f64 v[22:23], v[253:254], s[24:25], -v[16:17]
	v_mul_f64 v[16:17], v[213:214], s[30:31]
	v_add_f64 v[22:23], v[22:23], v[6:7]
	v_mul_f64 v[6:7], v[2:3], s[24:25]
	buffer_store_dword v6, off, s[60:63], 0 offset:740 ; 4-byte Folded Spill
	buffer_store_dword v7, off, s[60:63], 0 offset:744 ; 4-byte Folded Spill
	v_fma_f64 v[192:193], v[202:203], s[58:59], v[6:7]
	v_mul_f64 v[6:7], v[4:5], s[8:9]
	buffer_store_dword v6, off, s[60:63], 0 offset:556 ; 4-byte Folded Spill
	buffer_store_dword v7, off, s[60:63], 0 offset:560 ; 4-byte Folded Spill
	v_add_f64 v[20:21], v[192:193], v[20:21]
	v_fma_f64 v[192:193], v[237:238], s[8:9], -v[18:19]
	s_waitcnt_vscnt null, 0x0
	s_barrier
	buffer_gl0_inv
	v_add_f64 v[22:23], v[192:193], v[22:23]
	v_fma_f64 v[192:193], v[108:109], s[2:3], v[6:7]
	v_mul_f64 v[6:7], v[66:67], s[34:35]
	v_add_f64 v[20:21], v[192:193], v[20:21]
	v_fma_f64 v[192:193], v[233:234], s[30:31], -v[6:7]
	v_add_f64 v[192:193], v[192:193], v[22:23]
	v_fma_f64 v[22:23], v[241:242], s[34:35], v[16:17]
	v_add_f64 v[194:195], v[22:23], v[20:21]
	s_and_saveexec_b32 s1, vcc_lo
	s_cbranch_execz .LBB0_17
; %bb.16:
	v_add_f64 v[22:23], v[148:149], v[128:129]
	v_add_f64 v[20:21], v[150:151], v[130:131]
	v_mul_f64 v[128:129], v[243:244], s[38:39]
	v_add_f64 v[22:23], v[22:23], v[136:137]
	v_add_f64 v[20:21], v[20:21], v[138:139]
	v_fma_f64 v[130:131], v[80:81], s[36:37], v[128:129]
	v_fma_f64 v[128:129], v[80:81], s[36:37], -v[128:129]
	v_mul_f64 v[138:139], v[225:226], s[18:19]
	v_mul_f64 v[136:137], v[243:244], s[28:29]
	v_add_f64 v[22:23], v[22:23], v[144:145]
	v_add_f64 v[20:21], v[20:21], v[146:147]
	v_mul_f64 v[144:145], v[243:244], s[2:3]
	v_mul_f64 v[146:147], v[52:53], s[42:43]
	v_add_f64 v[138:139], v[138:139], v[24:25]
	v_add_f64 v[14:15], v[14:15], -v[136:137]
	v_mul_f64 v[136:137], v[225:226], s[26:27]
	v_add_f64 v[130:131], v[150:151], v[130:131]
	v_add_f64 v[128:129], v[150:151], v[128:129]
	v_add_f64 v[22:23], v[22:23], v[156:157]
	v_add_f64 v[20:21], v[20:21], v[158:159]
	v_add_f64 v[144:145], v[38:39], -v[144:145]
	v_fma_f64 v[156:157], v[225:226], s[40:41], -v[146:147]
	v_fma_f64 v[146:147], v[225:226], s[40:41], v[146:147]
	v_add_f64 v[14:15], v[150:151], v[14:15]
	v_add_f64 v[12:13], v[136:137], v[12:13]
	v_mul_f64 v[136:137], v[243:244], s[22:23]
	v_add_f64 v[22:23], v[22:23], v[164:165]
	v_add_f64 v[20:21], v[20:21], v[166:167]
	;; [unrolled: 1-line block ×5, first 2 shown]
	v_add_f64 v[10:11], v[10:11], -v[136:137]
	v_mul_f64 v[136:137], v[225:226], s[24:25]
	v_add_f64 v[22:23], v[22:23], v[172:173]
	v_add_f64 v[20:21], v[20:21], v[174:175]
	;; [unrolled: 1-line block ×4, first 2 shown]
	v_mul_f64 v[136:137], v[243:244], s[20:21]
	v_add_f64 v[22:23], v[22:23], v[176:177]
	v_add_f64 v[20:21], v[20:21], v[178:179]
	;; [unrolled: 1-line block ×3, first 2 shown]
	v_add_f64 v[136:137], v[36:37], -v[136:137]
	v_add_f64 v[22:23], v[22:23], v[168:169]
	v_add_f64 v[20:21], v[20:21], v[170:171]
	;; [unrolled: 1-line block ×3, first 2 shown]
	v_mov_b32_e32 v137, v35
	v_mov_b32_e32 v136, v34
	v_add_f64 v[22:23], v[22:23], v[160:161]
	v_add_f64 v[20:21], v[20:21], v[162:163]
	v_mul_f64 v[162:163], v[225:226], s[8:9]
	v_add_f64 v[22:23], v[22:23], v[152:153]
	v_add_f64 v[20:21], v[20:21], v[154:155]
	v_mul_f64 v[152:153], v[52:53], s[38:39]
	v_mul_f64 v[154:155], v[52:53], s[34:35]
	;; [unrolled: 1-line block ×3, first 2 shown]
	v_add_f64 v[22:23], v[22:23], v[140:141]
	v_add_f64 v[20:21], v[20:21], v[142:143]
	v_mul_f64 v[140:141], v[243:244], s[16:17]
	v_mul_f64 v[142:143], v[225:226], s[10:11]
	v_fma_f64 v[158:159], v[225:226], s[36:37], -v[152:153]
	v_fma_f64 v[152:153], v[225:226], s[36:37], v[152:153]
	v_fma_f64 v[160:161], v[225:226], s[30:31], -v[154:155]
	v_fma_f64 v[154:155], v[225:226], s[30:31], v[154:155]
	v_add_f64 v[22:23], v[22:23], v[132:133]
	v_add_f64 v[20:21], v[20:21], v[134:135]
	v_mul_f64 v[132:133], v[243:244], s[34:35]
	v_add_f64 v[158:159], v[148:149], v[158:159]
	v_add_f64 v[152:153], v[148:149], v[152:153]
	;; [unrolled: 1-line block ×5, first 2 shown]
	v_mul_f64 v[124:125], v[243:244], s[42:43]
	v_add_f64 v[20:21], v[20:21], v[126:127]
	v_fma_f64 v[134:135], v[80:81], s[30:31], v[132:133]
	v_fma_f64 v[132:133], v[80:81], s[30:31], -v[132:133]
	v_add_f64 v[22:23], v[22:23], v[120:121]
	v_fma_f64 v[126:127], v[80:81], s[40:41], v[124:125]
	v_fma_f64 v[124:125], v[80:81], s[40:41], -v[124:125]
	s_clause 0x1
	buffer_load_dword v80, off, s[60:63], 0 offset:596
	buffer_load_dword v81, off, s[60:63], 0 offset:600
	v_mul_f64 v[120:121], v[227:228], s[50:51]
	v_add_f64 v[134:135], v[150:151], v[134:135]
	v_add_f64 v[132:133], v[150:151], v[132:133]
	;; [unrolled: 1-line block ×3, first 2 shown]
	v_mul_f64 v[122:123], v[44:45], s[50:51]
	v_add_f64 v[126:127], v[150:151], v[126:127]
	v_add_f64 v[124:125], v[150:151], v[124:125]
	v_fma_f64 v[10:11], v[200:201], s[8:9], -v[122:123]
	v_add_f64 v[10:11], v[10:11], v[156:157]
	s_waitcnt vmcnt(0)
	v_add_f64 v[140:141], v[80:81], -v[140:141]
	s_clause 0x3
	buffer_load_dword v80, off, s[60:63], 0 offset:580
	buffer_load_dword v81, off, s[60:63], 0 offset:584
	;; [unrolled: 1-line block ×4, first 2 shown]
	buffer_store_dword v8, off, s[60:63], 0 offset:836 ; 4-byte Folded Spill
	buffer_store_dword v9, off, s[60:63], 0 offset:840 ; 4-byte Folded Spill
	v_add_f64 v[8:9], v[148:149], v[138:139]
	v_mov_b32_e32 v139, v31
	v_mov_b32_e32 v138, v30
	buffer_store_dword v8, off, s[60:63], 0 offset:828 ; 4-byte Folded Spill
	buffer_store_dword v9, off, s[60:63], 0 offset:832 ; 4-byte Folded Spill
	v_add_f64 v[8:9], v[150:151], v[140:141]
	v_mov_b32_e32 v141, v41
	v_mov_b32_e32 v140, v40
	buffer_store_dword v8, off, s[60:63], 0 offset:820 ; 4-byte Folded Spill
	buffer_store_dword v9, off, s[60:63], 0 offset:824 ; 4-byte Folded Spill
	s_waitcnt vmcnt(2)
	v_add_f64 v[142:143], v[142:143], v[80:81]
	s_waitcnt vmcnt(0)
	v_add_f64 v[162:163], v[162:163], v[24:25]
	v_mul_f64 v[80:81], v[66:67], s[58:59]
	v_add_f64 v[8:9], v[148:149], v[142:143]
	v_mov_b32_e32 v142, v182
	v_mov_b32_e32 v143, v183
	;; [unrolled: 1-line block ×6, first 2 shown]
	v_mul_f64 v[32:33], v[219:220], s[2:3]
	buffer_store_dword v8, off, s[60:63], 0 offset:812 ; 4-byte Folded Spill
	buffer_store_dword v9, off, s[60:63], 0 offset:816 ; 4-byte Folded Spill
	v_add_f64 v[8:9], v[150:151], v[144:145]
	v_mov_b32_e32 v144, v180
	v_mov_b32_e32 v145, v181
	v_mov_b32_e32 v180, v221
	v_mov_b32_e32 v181, v222
	v_mov_b32_e32 v222, v51
	v_fma_f64 v[34:35], v[239:240], s[8:9], v[32:33]
	v_fma_f64 v[32:33], v[239:240], s[8:9], -v[32:33]
	v_mov_b32_e32 v221, v50
	buffer_store_dword v8, off, s[60:63], 0 offset:780 ; 4-byte Folded Spill
	buffer_store_dword v9, off, s[60:63], 0 offset:784 ; 4-byte Folded Spill
	v_add_f64 v[8:9], v[148:149], v[162:163]
	v_mov_b32_e32 v149, v29
	v_mov_b32_e32 v148, v28
	buffer_store_dword v8, off, s[60:63], 0 offset:772 ; 4-byte Folded Spill
	buffer_store_dword v9, off, s[60:63], 0 offset:776 ; 4-byte Folded Spill
	v_fma_f64 v[8:9], v[223:224], s[8:9], v[120:121]
	v_fma_f64 v[120:121], v[223:224], s[8:9], -v[120:121]
	v_add_f64 v[8:9], v[8:9], v[126:127]
	v_mul_f64 v[126:127], v[219:220], s[38:39]
	v_fma_f64 v[150:151], v[239:240], s[36:37], v[126:127]
	v_fma_f64 v[126:127], v[239:240], s[36:37], -v[126:127]
	v_add_f64 v[8:9], v[150:151], v[8:9]
	v_mul_f64 v[150:151], v[46:47], s[38:39]
	v_fma_f64 v[156:157], v[207:208], s[36:37], -v[150:151]
	v_add_f64 v[10:11], v[156:157], v[10:11]
	v_mul_f64 v[156:157], v[235:236], s[52:53]
	v_fma_f64 v[162:163], v[247:248], s[10:11], v[156:157]
	v_add_f64 v[8:9], v[162:163], v[8:9]
	v_mul_f64 v[162:163], v[50:51], s[52:53]
	v_mul_f64 v[50:51], v[235:236], s[20:21]
	v_fma_f64 v[168:169], v[217:218], s[10:11], -v[162:163]
	v_add_f64 v[10:11], v[168:169], v[10:11]
	v_mul_f64 v[168:169], v[209:210], s[34:35]
	v_fma_f64 v[170:171], v[0:1], s[30:31], v[168:169]
	v_fma_f64 v[168:169], v[0:1], s[30:31], -v[168:169]
	v_add_f64 v[8:9], v[170:171], v[8:9]
	v_mul_f64 v[170:171], v[62:63], s[34:35]
	v_fma_f64 v[172:173], v[249:250], s[30:31], -v[170:171]
	v_add_f64 v[10:11], v[172:173], v[10:11]
	v_mul_f64 v[172:173], v[202:203], s[46:47]
	v_fma_f64 v[174:175], v[2:3], s[18:19], v[172:173]
	v_add_f64 v[8:9], v[174:175], v[8:9]
	v_mul_f64 v[174:175], v[110:111], s[46:47]
	v_fma_f64 v[176:177], v[253:254], s[18:19], -v[174:175]
	v_add_f64 v[10:11], v[176:177], v[10:11]
	v_mul_f64 v[176:177], v[108:109], s[28:29]
	v_fma_f64 v[178:179], v[4:5], s[26:27], v[176:177]
	v_fma_f64 v[176:177], v[4:5], s[26:27], -v[176:177]
	v_add_f64 v[8:9], v[178:179], v[8:9]
	v_mul_f64 v[178:179], v[64:65], s[28:29]
	v_fma_f64 v[225:226], v[237:238], s[26:27], -v[178:179]
	v_add_f64 v[225:226], v[225:226], v[10:11]
	v_mul_f64 v[10:11], v[241:242], s[58:59]
	buffer_store_dword v10, off, s[60:63], 0 offset:748 ; 4-byte Folded Spill
	buffer_store_dword v11, off, s[60:63], 0 offset:752 ; 4-byte Folded Spill
	v_fma_f64 v[10:11], v[213:214], s[24:25], v[10:11]
	v_add_f64 v[10:11], v[10:11], v[8:9]
	v_fma_f64 v[8:9], v[233:234], s[24:25], -v[80:81]
	v_add_f64 v[8:9], v[8:9], v[225:226]
	v_mul_f64 v[225:226], v[202:203], s[16:17]
	buffer_store_dword v8, off, s[60:63], 0 offset:580 ; 4-byte Folded Spill
	buffer_store_dword v9, off, s[60:63], 0 offset:584 ; 4-byte Folded Spill
	;; [unrolled: 1-line block ×4, first 2 shown]
	v_add_f64 v[8:9], v[20:21], v[118:119]
	v_mul_f64 v[118:119], v[202:203], s[42:43]
	v_fma_f64 v[243:244], v[2:3], s[10:11], v[225:226]
	buffer_store_dword v8, off, s[60:63], 0 offset:692 ; 4-byte Folded Spill
	buffer_store_dword v9, off, s[60:63], 0 offset:696 ; 4-byte Folded Spill
	v_add_f64 v[8:9], v[22:23], v[116:117]
	v_fma_f64 v[116:117], v[2:3], s[18:19], -v[172:173]
	v_fma_f64 v[172:173], v[2:3], s[40:41], v[118:119]
	v_fma_f64 v[118:119], v[2:3], s[40:41], -v[118:119]
	v_fma_f64 v[2:3], v[2:3], s[10:11], -v[225:226]
	v_mul_f64 v[225:226], v[209:210], s[2:3]
	buffer_store_dword v8, off, s[60:63], 0 offset:596 ; 4-byte Folded Spill
	buffer_store_dword v9, off, s[60:63], 0 offset:600 ; 4-byte Folded Spill
	;; [unrolled: 1-line block ×16, first 2 shown]
	v_mov_b32_e32 v216, v45
	v_mov_b32_e32 v215, v44
	v_mul_f64 v[44:45], v[108:109], s[42:43]
	v_mul_f64 v[18:19], v[209:210], s[58:59]
	v_fma_f64 v[16:17], v[0:1], s[8:9], v[225:226]
	v_fma_f64 v[225:226], v[0:1], s[8:9], -v[225:226]
	v_mov_b32_e32 v83, v27
	v_mov_b32_e32 v82, v26
	v_mov_b32_e32 v115, v49
	v_mov_b32_e32 v114, v48
	v_mul_f64 v[48:49], v[219:220], s[52:53]
	v_mov_b32_e32 v20, v56
	v_mov_b32_e32 v21, v57
	;; [unrolled: 1-line block ×4, first 2 shown]
	v_mul_f64 v[56:57], v[249:250], s[40:41]
	v_mul_f64 v[58:59], v[200:201], s[36:37]
	v_fma_f64 v[8:9], v[4:5], s[40:41], v[44:45]
	buffer_store_dword v8, off, s[60:63], 0 offset:756 ; 4-byte Folded Spill
	buffer_store_dword v9, off, s[60:63], 0 offset:760 ; 4-byte Folded Spill
	s_clause 0x1
	buffer_load_dword v8, off, s[60:63], 0 offset:700
	buffer_load_dword v9, off, s[60:63], 0 offset:704
	v_fma_f64 v[6:7], v[0:1], s[24:25], v[18:19]
	v_fma_f64 v[0:1], v[0:1], s[24:25], -v[18:19]
	v_fma_f64 v[18:19], v[247:248], s[10:11], -v[156:157]
	v_mul_f64 v[156:157], v[235:236], s[56:57]
	v_fma_f64 v[24:25], v[247:248], s[30:31], v[156:157]
	v_fma_f64 v[26:27], v[247:248], s[30:31], -v[156:157]
	v_mul_f64 v[156:157], v[235:236], s[38:39]
	v_fma_f64 v[28:29], v[247:248], s[36:37], v[156:157]
	v_fma_f64 v[30:31], v[247:248], s[36:37], -v[156:157]
	v_mul_f64 v[156:157], v[219:220], s[22:23]
	v_fma_f64 v[247:248], v[239:240], s[24:25], v[156:157]
	v_fma_f64 v[156:157], v[239:240], s[24:25], -v[156:157]
	v_mul_f64 v[239:240], v[227:228], s[46:47]
	v_fma_f64 v[36:37], v[223:224], s[18:19], v[239:240]
	v_fma_f64 v[38:39], v[223:224], s[18:19], -v[239:240]
	v_mul_f64 v[239:240], v[227:228], s[48:49]
	v_add_f64 v[36:37], v[36:37], v[130:131]
	v_add_f64 v[38:39], v[38:39], v[128:129]
	v_fma_f64 v[40:41], v[223:224], s[26:27], v[239:240]
	v_fma_f64 v[42:43], v[223:224], s[26:27], -v[239:240]
	v_mul_f64 v[223:224], v[108:109], s[52:53]
	v_mul_f64 v[128:129], v[215:216], s[48:49]
	v_add_f64 v[36:37], v[247:248], v[36:37]
	v_add_f64 v[38:39], v[156:157], v[38:39]
	;; [unrolled: 1-line block ×4, first 2 shown]
	v_fma_f64 v[239:240], v[4:5], s[10:11], v[223:224]
	v_fma_f64 v[223:224], v[4:5], s[10:11], -v[223:224]
	v_fma_f64 v[4:5], v[4:5], s[40:41], -v[44:45]
	v_mul_f64 v[44:45], v[227:228], s[44:45]
	v_fma_f64 v[130:131], v[200:201], s[26:27], -v[128:129]
	v_fma_f64 v[128:129], v[200:201], s[26:27], v[128:129]
	v_add_f64 v[24:25], v[24:25], v[36:37]
	v_mul_f64 v[36:37], v[221:222], s[56:57]
	v_add_f64 v[34:35], v[34:35], v[40:41]
	v_mul_f64 v[40:41], v[46:47], s[2:3]
	v_add_f64 v[32:33], v[32:33], v[42:43]
	v_add_f64 v[26:27], v[26:27], v[38:39]
	;; [unrolled: 1-line block ×6, first 2 shown]
	v_mul_f64 v[34:35], v[221:222], s[38:39]
	v_add_f64 v[30:31], v[30:31], v[32:33]
	v_add_f64 v[26:27], v[225:226], v[26:27]
	;; [unrolled: 1-line block ×4, first 2 shown]
	v_fma_f64 v[32:33], v[217:218], s[36:37], v[34:35]
	v_fma_f64 v[38:39], v[217:218], s[36:37], -v[34:35]
	v_fma_f64 v[34:35], v[249:250], s[30:31], v[170:171]
	v_add_f64 v[0:1], v[0:1], v[30:31]
	v_fma_f64 v[30:31], v[253:254], s[18:19], v[174:175]
	v_add_f64 v[26:27], v[118:119], v[26:27]
	v_add_f64 v[6:7], v[243:244], v[6:7]
	v_add_f64 v[0:1], v[2:3], v[0:1]
	v_mul_f64 v[2:3], v[110:111], s[16:17]
	s_waitcnt vmcnt(0)
	v_add_f64 v[44:45], v[8:9], -v[44:45]
	s_clause 0x1
	buffer_load_dword v8, off, s[60:63], 0 offset:708
	buffer_load_dword v9, off, s[60:63], 0 offset:712
	v_add_f64 v[14:15], v[44:45], v[14:15]
	s_waitcnt vmcnt(0)
	v_add_f64 v[48:49], v[8:9], -v[48:49]
	s_clause 0x1
	buffer_load_dword v8, off, s[60:63], 0 offset:724
	buffer_load_dword v9, off, s[60:63], 0 offset:728
	v_add_f64 v[14:15], v[48:49], v[14:15]
	v_fma_f64 v[48:49], v[217:218], s[30:31], -v[36:37]
	v_fma_f64 v[36:37], v[217:218], s[30:31], v[36:37]
	s_waitcnt vmcnt(0)
	v_add_f64 v[50:51], v[8:9], -v[50:51]
	s_clause 0x1
	buffer_load_dword v8, off, s[60:63], 0 offset:732
	buffer_load_dword v9, off, s[60:63], 0 offset:736
	buffer_store_dword v54, off, s[60:63], 0 offset:700 ; 4-byte Folded Spill
	buffer_store_dword v55, off, s[60:63], 0 offset:704 ; 4-byte Folded Spill
	v_mul_f64 v[54:55], v[202:203], s[58:59]
	v_add_f64 v[14:15], v[50:51], v[14:15]
	v_mul_f64 v[50:51], v[209:210], s[52:53]
	s_waitcnt vmcnt(0)
	v_add_f64 v[52:53], v[8:9], -v[52:53]
	s_clause 0x1
	buffer_load_dword v8, off, s[60:63], 0 offset:740
	buffer_load_dword v9, off, s[60:63], 0 offset:744
	v_add_f64 v[14:15], v[52:53], v[14:15]
	v_mul_f64 v[52:53], v[200:201], s[24:25]
	v_add_f64 v[52:53], v[52:53], v[180:181]
	s_waitcnt vmcnt(0)
	v_add_f64 v[8:9], v[8:9], -v[54:55]
	buffer_store_dword v8, off, s[60:63], 0 offset:708 ; 4-byte Folded Spill
	buffer_store_dword v9, off, s[60:63], 0 offset:712 ; 4-byte Folded Spill
	s_clause 0x1
	buffer_load_dword v8, off, s[60:63], 0 offset:716
	buffer_load_dword v9, off, s[60:63], 0 offset:720
	v_mov_b32_e32 v54, v76
	v_mov_b32_e32 v55, v77
	v_mul_f64 v[76:77], v[207:208], s[26:27]
	s_waitcnt vmcnt(0)
	v_add_f64 v[8:9], v[56:57], v[8:9]
	buffer_store_dword v8, off, s[60:63], 0 offset:716 ; 4-byte Folded Spill
	buffer_store_dword v9, off, s[60:63], 0 offset:720 ; 4-byte Folded Spill
	s_clause 0x1
	buffer_load_dword v8, off, s[60:63], 0 offset:660
	buffer_load_dword v9, off, s[60:63], 0 offset:664
	v_mov_b32_e32 v56, v60
	v_mov_b32_e32 v57, v61
	v_mul_f64 v[60:61], v[207:208], s[10:11]
	s_waitcnt vmcnt(0)
	v_add_f64 v[58:59], v[58:59], v[8:9]
	s_clause 0x1
	buffer_load_dword v8, off, s[60:63], 0 offset:668
	buffer_load_dword v9, off, s[60:63], 0 offset:672
	buffer_store_dword v245, off, s[60:63], 0 offset:660 ; 4-byte Folded Spill
	buffer_store_dword v246, off, s[60:63], 0 offset:664 ; 4-byte Folded Spill
	v_mov_b32_e32 v246, v63
	v_mov_b32_e32 v245, v62
	v_mul_f64 v[62:63], v[217:218], s[18:19]
	v_mul_f64 v[24:25], v[245:246], s[2:3]
	;; [unrolled: 1-line block ×3, first 2 shown]
	v_add_f64 v[12:13], v[58:59], v[12:13]
	s_waitcnt vmcnt(0)
	v_add_f64 v[60:61], v[60:61], v[8:9]
	s_clause 0x1
	buffer_load_dword v8, off, s[60:63], 0 offset:684
	buffer_load_dword v9, off, s[60:63], 0 offset:688
	buffer_store_dword v251, off, s[60:63], 0 offset:668 ; 4-byte Folded Spill
	buffer_store_dword v252, off, s[60:63], 0 offset:672 ; 4-byte Folded Spill
	v_mov_b32_e32 v252, v65
	v_mov_b32_e32 v251, v64
	v_mul_f64 v[64:65], v[209:210], s[20:21]
	v_add_f64 v[12:13], v[60:61], v[12:13]
	v_mul_f64 v[60:61], v[227:228], s[16:17]
	v_add_f64 v[60:61], v[82:83], -v[60:61]
	s_waitcnt vmcnt(0)
	v_add_f64 v[62:63], v[62:63], v[8:9]
	s_clause 0x3
	buffer_load_dword v8, off, s[60:63], 0 offset:652
	buffer_load_dword v9, off, s[60:63], 0 offset:656
	;; [unrolled: 1-line block ×4, first 2 shown]
	buffer_store_dword v68, off, s[60:63], 0 offset:620 ; 4-byte Folded Spill
	buffer_store_dword v69, off, s[60:63], 0 offset:624 ; 4-byte Folded Spill
	v_mul_f64 v[68:69], v[219:220], s[48:49]
	v_add_f64 v[12:13], v[62:63], v[12:13]
	v_mul_f64 v[62:63], v[253:254], s[24:25]
	s_waitcnt vmcnt(2)
	v_add_f64 v[64:65], v[8:9], -v[64:65]
	v_mov_b32_e32 v8, v66
	v_mov_b32_e32 v9, v67
	v_mul_f64 v[66:67], v[227:228], s[42:43]
	s_waitcnt vmcnt(0)
	v_add_f64 v[66:67], v[10:11], -v[66:67]
	s_clause 0x1
	buffer_load_dword v10, off, s[60:63], 0 offset:636
	buffer_load_dword v11, off, s[60:63], 0 offset:640
	buffer_store_dword v70, off, s[60:63], 0 offset:652 ; 4-byte Folded Spill
	buffer_store_dword v71, off, s[60:63], 0 offset:656 ; 4-byte Folded Spill
	v_mul_f64 v[70:71], v[235:236], s[50:51]
	v_add_f64 v[44:45], v[66:67], v[164:165]
	s_waitcnt vmcnt(0)
	v_add_f64 v[68:69], v[10:11], -v[68:69]
	s_clause 0x1
	buffer_load_dword v10, off, s[60:63], 0 offset:644
	buffer_load_dword v11, off, s[60:63], 0 offset:648
	buffer_store_dword v72, off, s[60:63], 0 offset:636 ; 4-byte Folded Spill
	buffer_store_dword v73, off, s[60:63], 0 offset:640 ; 4-byte Folded Spill
	v_mul_f64 v[72:73], v[217:218], s[8:9]
	v_add_f64 v[42:43], v[68:69], v[44:45]
	v_fma_f64 v[44:45], v[217:218], s[10:11], v[162:163]
	v_mul_f64 v[68:69], v[207:208], s[30:31]
	v_add_f64 v[68:69], v[68:69], v[211:212]
	s_waitcnt vmcnt(0)
	v_add_f64 v[70:71], v[10:11], -v[70:71]
	s_clause 0x1
	buffer_load_dword v10, off, s[60:63], 0 offset:628
	buffer_load_dword v11, off, s[60:63], 0 offset:632
	buffer_store_dword v74, off, s[60:63], 0 offset:628 ; 4-byte Folded Spill
	buffer_store_dword v75, off, s[60:63], 0 offset:632 ; 4-byte Folded Spill
	v_mul_f64 v[74:75], v[200:201], s[40:41]
	s_waitcnt vmcnt(0)
	v_add_f64 v[72:73], v[72:73], v[10:11]
	s_clause 0x1
	buffer_load_dword v10, off, s[60:63], 0 offset:604
	buffer_load_dword v11, off, s[60:63], 0 offset:608
	s_waitcnt vmcnt(0)
	v_add_f64 v[74:75], v[74:75], v[10:11]
	s_clause 0x1
	buffer_load_dword v10, off, s[60:63], 0 offset:612
	buffer_load_dword v11, off, s[60:63], 0 offset:616
	v_add_f64 v[58:59], v[74:75], v[166:167]
	v_fma_f64 v[74:75], v[207:208], s[36:37], v[150:151]
	s_waitcnt vmcnt(0)
	v_add_f64 v[76:77], v[76:77], v[10:11]
	v_mov_b32_e32 v10, v78
	v_mov_b32_e32 v11, v79
	v_add_f64 v[78:79], v[120:121], v[124:125]
	v_fma_f64 v[120:121], v[200:201], s[8:9], v[122:123]
	v_mul_f64 v[122:123], v[215:216], s[46:47]
	v_add_f64 v[66:67], v[126:127], v[78:79]
	v_add_f64 v[120:121], v[120:121], v[146:147]
	v_fma_f64 v[124:125], v[200:201], s[18:19], -v[122:123]
	v_fma_f64 v[122:123], v[200:201], s[18:19], v[122:123]
	v_mul_f64 v[78:79], v[46:47], s[22:23]
	v_add_f64 v[18:19], v[18:19], v[66:67]
	v_add_f64 v[74:75], v[74:75], v[120:121]
	v_add_f64 v[124:125], v[124:125], v[158:159]
	v_add_f64 v[122:123], v[122:123], v[152:153]
	v_fma_f64 v[120:121], v[207:208], s[24:25], -v[78:79]
	v_fma_f64 v[78:79], v[207:208], s[24:25], v[78:79]
	v_mul_f64 v[66:67], v[219:220], s[34:35]
	v_add_f64 v[18:19], v[168:169], v[18:19]
	v_add_f64 v[44:45], v[44:45], v[74:75]
	v_mul_f64 v[74:75], v[235:236], s[42:43]
	v_add_f64 v[120:121], v[120:121], v[124:125]
	v_add_f64 v[78:79], v[78:79], v[122:123]
	v_fma_f64 v[122:123], v[207:208], s[8:9], -v[40:41]
	v_fma_f64 v[40:41], v[207:208], s[8:9], v[40:41]
	v_add_f64 v[66:67], v[229:230], -v[66:67]
	v_add_f64 v[18:19], v[116:117], v[18:19]
	v_add_f64 v[34:35], v[34:35], v[44:45]
	v_add_f64 v[74:75], v[205:206], -v[74:75]
	v_mul_f64 v[116:117], v[237:238], s[36:37]
	v_add_f64 v[48:49], v[48:49], v[120:121]
	v_add_f64 v[36:37], v[36:37], v[78:79]
	;; [unrolled: 1-line block ×4, first 2 shown]
	v_mul_f64 v[78:79], v[202:203], s[48:49]
	v_add_f64 v[18:19], v[176:177], v[18:19]
	v_add_f64 v[30:31], v[30:31], v[34:35]
	;; [unrolled: 1-line block ×4, first 2 shown]
	v_fma_f64 v[40:41], v[249:250], s[8:9], -v[24:25]
	v_fma_f64 v[24:25], v[249:250], s[8:9], v[24:25]
	v_add_f64 v[78:79], v[10:11], -v[78:79]
	v_add_f64 v[40:41], v[40:41], v[48:49]
	v_add_f64 v[24:25], v[24:25], v[36:37]
	v_fma_f64 v[36:37], v[249:250], s[24:25], -v[28:29]
	v_fma_f64 v[28:29], v[249:250], s[24:25], v[28:29]
	v_mul_f64 v[48:49], v[200:201], s[30:31]
	v_add_f64 v[36:37], v[36:37], v[38:39]
	v_add_f64 v[28:29], v[28:29], v[32:33]
	v_mul_f64 v[32:33], v[110:111], s[42:43]
	v_mul_f64 v[38:39], v[219:220], s[54:55]
	;; [unrolled: 1-line block ×3, first 2 shown]
	v_fma_f64 v[34:35], v[253:254], s[40:41], -v[32:33]
	v_fma_f64 v[32:33], v[253:254], s[40:41], v[32:33]
	v_add_f64 v[110:111], v[56:57], -v[110:111]
	v_mul_f64 v[56:57], v[108:109], s[56:57]
	v_add_f64 v[34:35], v[34:35], v[40:41]
	v_add_f64 v[24:25], v[32:33], v[24:25]
	v_fma_f64 v[32:33], v[253:254], s[10:11], -v[2:3]
	v_fma_f64 v[2:3], v[253:254], s[10:11], v[2:3]
	v_add_f64 v[32:33], v[32:33], v[36:37]
	v_add_f64 v[2:3], v[2:3], v[28:29]
	v_fma_f64 v[28:29], v[237:238], s[26:27], v[178:179]
	v_add_f64 v[28:29], v[28:29], v[30:31]
	v_add_f64 v[30:31], v[239:240], v[16:17]
	;; [unrolled: 1-line block ×3, first 2 shown]
	v_mul_f64 v[26:27], v[251:252], s[52:53]
	v_fma_f64 v[36:37], v[237:238], s[10:11], v[26:27]
	v_fma_f64 v[26:27], v[237:238], s[10:11], -v[26:27]
	v_add_f64 v[24:25], v[36:37], v[24:25]
	v_add_f64 v[36:37], v[4:5], v[0:1]
	s_clause 0x3
	buffer_load_dword v4, off, s[60:63], 0 offset:476
	buffer_load_dword v5, off, s[60:63], 0 offset:480
	;; [unrolled: 1-line block ×4, first 2 shown]
	v_mul_f64 v[0:1], v[227:228], s[34:35]
	v_add_f64 v[26:27], v[26:27], v[34:35]
	s_waitcnt vmcnt(2)
	v_add_f64 v[0:1], v[4:5], -v[0:1]
	s_waitcnt vmcnt(0)
	v_add_f64 v[38:39], v[40:41], -v[38:39]
	s_clause 0x5
	buffer_load_dword v40, off, s[60:63], 0 offset:836
	buffer_load_dword v41, off, s[60:63], 0 offset:840
	;; [unrolled: 1-line block ×6, first 2 shown]
	v_add_f64 v[4:5], v[76:77], v[58:59]
	v_mul_f64 v[58:59], v[207:208], s[40:41]
	v_mul_f64 v[76:77], v[217:218], s[24:25]
	v_add_f64 v[4:5], v[72:73], v[4:5]
	v_mul_f64 v[72:73], v[219:220], s[20:21]
	v_add_f64 v[76:77], v[76:77], v[138:139]
	v_add_f64 v[72:73], v[112:113], -v[72:73]
	s_waitcnt vmcnt(4)
	v_add_f64 v[0:1], v[0:1], v[40:41]
	v_add_f64 v[40:41], v[70:71], v[42:43]
	v_mul_f64 v[42:43], v[249:250], s[18:19]
	v_mul_f64 v[70:71], v[217:218], s[26:27]
	v_add_f64 v[0:1], v[38:39], v[0:1]
	v_mul_f64 v[38:39], v[227:228], s[22:23]
	s_waitcnt vmcnt(2)
	v_add_f64 v[42:43], v[42:43], v[44:45]
	v_mul_f64 v[44:45], v[235:236], s[48:49]
	v_add_f64 v[40:41], v[64:65], v[40:41]
	v_mul_f64 v[64:65], v[253:254], s[36:37]
	v_add_f64 v[38:39], v[231:232], -v[38:39]
	v_add_f64 v[4:5], v[42:43], v[4:5]
	s_waitcnt vmcnt(0)
	v_add_f64 v[44:45], v[46:47], -v[44:45]
	s_clause 0x1
	buffer_load_dword v46, off, s[60:63], 0 offset:460
	buffer_load_dword v47, off, s[60:63], 0 offset:464
	v_mul_f64 v[42:43], v[108:109], s[2:3]
	v_add_f64 v[0:1], v[44:45], v[0:1]
	v_mul_f64 v[44:45], v[200:201], s[10:11]
	s_waitcnt vmcnt(0)
	v_add_f64 v[48:49], v[48:49], v[46:47]
	s_clause 0x1
	buffer_load_dword v46, off, s[60:63], 0 offset:500
	buffer_load_dword v47, off, s[60:63], 0 offset:504
	s_waitcnt vmcnt(0)
	v_add_f64 v[50:51], v[46:47], -v[50:51]
	s_clause 0x1
	buffer_load_dword v46, off, s[60:63], 0 offset:468
	buffer_load_dword v47, off, s[60:63], 0 offset:472
	v_add_f64 v[0:1], v[50:51], v[0:1]
	v_mul_f64 v[50:51], v[253:254], s[8:9]
	s_waitcnt vmcnt(0)
	v_add_f64 v[58:59], v[58:59], v[46:47]
	s_clause 0x1
	buffer_load_dword v46, off, s[60:63], 0 offset:828
	buffer_load_dword v47, off, s[60:63], 0 offset:832
	s_waitcnt vmcnt(0)
	v_add_f64 v[48:49], v[48:49], v[46:47]
	s_clause 0x1
	buffer_load_dword v46, off, s[60:63], 0 offset:676
	buffer_load_dword v47, off, s[60:63], 0 offset:680
	v_add_f64 v[48:49], v[58:59], v[48:49]
	v_mul_f64 v[58:59], v[207:208], s[18:19]
	v_add_f64 v[58:59], v[58:59], v[148:149]
	s_waitcnt vmcnt(0)
	v_add_f64 v[44:45], v[44:45], v[46:47]
	s_clause 0x1
	buffer_load_dword v46, off, s[60:63], 0 offset:820
	buffer_load_dword v47, off, s[60:63], 0 offset:824
	s_waitcnt vmcnt(0)
	v_add_f64 v[38:39], v[38:39], v[46:47]
	s_clause 0x1
	buffer_load_dword v46, off, s[60:63], 0 offset:812
	buffer_load_dword v47, off, s[60:63], 0 offset:816
	v_add_f64 v[38:39], v[66:67], v[38:39]
	v_mul_f64 v[66:67], v[217:218], s[40:41]
	v_add_f64 v[38:39], v[74:75], v[38:39]
	v_mul_f64 v[74:75], v[202:203], s[38:39]
	v_add_f64 v[66:67], v[66:67], v[182:183]
	s_waitcnt vmcnt(0)
	v_add_f64 v[52:53], v[52:53], v[46:47]
	s_clause 0x1
	buffer_load_dword v46, off, s[60:63], 0 offset:452
	buffer_load_dword v47, off, s[60:63], 0 offset:456
	v_add_f64 v[52:53], v[68:69], v[52:53]
	v_mul_f64 v[68:69], v[235:236], s[22:23]
	v_add_f64 v[52:53], v[66:67], v[52:53]
	v_add_f64 v[68:69], v[136:137], -v[68:69]
	v_mul_f64 v[66:67], v[209:210], s[28:29]
	v_add_f64 v[66:67], v[114:115], -v[66:67]
	s_waitcnt vmcnt(0)
	v_add_f64 v[70:71], v[70:71], v[46:47]
	s_clause 0x1
	buffer_load_dword v46, off, s[60:63], 0 offset:780
	buffer_load_dword v47, off, s[60:63], 0 offset:784
	v_add_f64 v[48:49], v[70:71], v[48:49]
	v_mul_f64 v[70:71], v[249:250], s[36:37]
	v_add_f64 v[70:71], v[70:71], v[144:145]
	v_add_f64 v[52:53], v[70:71], v[52:53]
	v_mul_f64 v[70:71], v[108:109], s[22:23]
	s_waitcnt vmcnt(0)
	v_add_f64 v[60:61], v[60:61], v[46:47]
	s_clause 0x1
	buffer_load_dword v46, off, s[60:63], 0 offset:772
	buffer_load_dword v47, off, s[60:63], 0 offset:776
	v_add_f64 v[60:61], v[72:73], v[60:61]
	v_mul_f64 v[72:73], v[249:250], s[10:11]
	v_add_f64 v[60:61], v[68:69], v[60:61]
	v_mul_f64 v[68:69], v[249:250], s[26:27]
	;; [unrolled: 2-line block ×3, first 2 shown]
	v_add_f64 v[68:69], v[68:69], v[140:141]
	v_add_f64 v[60:61], v[110:111], v[60:61]
	s_waitcnt vmcnt(0)
	v_add_f64 v[44:45], v[44:45], v[46:47]
	s_clause 0x1
	buffer_load_dword v46, off, s[60:63], 0 offset:444
	buffer_load_dword v47, off, s[60:63], 0 offset:448
	v_add_f64 v[44:45], v[58:59], v[44:45]
	v_mul_f64 v[58:59], v[209:210], s[44:45]
	v_add_f64 v[44:45], v[76:77], v[44:45]
	v_mul_f64 v[76:77], v[202:203], s[2:3]
	v_add_f64 v[58:59], v[142:143], -v[58:59]
	v_add_f64 v[44:45], v[68:69], v[44:45]
	v_mul_f64 v[68:69], v[237:238], s[30:31]
	v_add_f64 v[38:39], v[58:59], v[38:39]
	v_mul_f64 v[58:59], v[253:254], s[26:27]
	v_add_f64 v[38:39], v[78:79], v[38:39]
	v_add_f64 v[58:59], v[58:59], v[54:55]
	v_mul_f64 v[54:55], v[237:238], s[8:9]
	v_mul_f64 v[78:79], v[108:109], s[38:39]
	v_add_f64 v[52:53], v[58:59], v[52:53]
	s_waitcnt vmcnt(0)
	v_add_f64 v[72:73], v[72:73], v[46:47]
	s_clause 0x1
	buffer_load_dword v46, off, s[60:63], 0 offset:564
	buffer_load_dword v47, off, s[60:63], 0 offset:568
	v_add_f64 v[48:49], v[72:73], v[48:49]
	v_mul_f64 v[72:73], v[237:238], s[24:25]
	s_waitcnt vmcnt(0)
	v_add_f64 v[62:63], v[62:63], v[46:47]
	s_clause 0x1
	buffer_load_dword v46, off, s[60:63], 0 offset:548
	buffer_load_dword v47, off, s[60:63], 0 offset:552
	s_waitcnt vmcnt(0)
	v_add_f64 v[74:75], v[46:47], -v[74:75]
	s_clause 0x1
	buffer_load_dword v46, off, s[60:63], 0 offset:540
	buffer_load_dword v47, off, s[60:63], 0 offset:544
	v_add_f64 v[40:41], v[74:75], v[40:41]
	v_mul_f64 v[74:75], v[108:109], s[46:47]
	v_mul_f64 v[108:109], v[251:252], s[42:43]
	v_fma_f64 v[110:111], v[237:238], s[40:41], -v[108:109]
	v_fma_f64 v[108:109], v[237:238], s[40:41], v[108:109]
	v_add_f64 v[32:33], v[110:111], v[32:33]
	v_add_f64 v[130:131], v[108:109], v[2:3]
	s_waitcnt vmcnt(0)
	v_add_f64 v[64:65], v[64:65], v[46:47]
	s_clause 0x1
	buffer_load_dword v46, off, s[60:63], 0 offset:428
	buffer_load_dword v47, off, s[60:63], 0 offset:432
	v_add_f64 v[4:5], v[64:65], v[4:5]
	s_waitcnt vmcnt(0)
	v_add_f64 v[76:77], v[46:47], -v[76:77]
	s_clause 0x3
	buffer_load_dword v46, off, s[60:63], 0 offset:420
	buffer_load_dword v47, off, s[60:63], 0 offset:424
	;; [unrolled: 1-line block ×4, first 2 shown]
	v_add_f64 v[0:1], v[76:77], v[0:1]
	v_mul_f64 v[76:77], v[237:238], s[18:19]
	s_waitcnt vmcnt(2)
	v_add_f64 v[50:51], v[50:51], v[46:47]
	s_waitcnt vmcnt(0)
	v_add_f64 v[66:67], v[66:67], v[10:11]
	s_clause 0x1
	buffer_load_dword v10, off, s[60:63], 0 offset:716
	buffer_load_dword v11, off, s[60:63], 0 offset:720
	v_add_f64 v[48:49], v[50:51], v[48:49]
	v_mul_f64 v[50:51], v[241:242], s[34:35]
	v_add_f64 v[44:45], v[66:67], v[44:45]
	s_waitcnt vmcnt(0)
	v_add_f64 v[12:13], v[10:11], v[12:13]
	s_clause 0x1
	buffer_load_dword v10, off, s[60:63], 0 offset:556
	buffer_load_dword v11, off, s[60:63], 0 offset:560
	v_add_f64 v[12:13], v[62:63], v[12:13]
	s_waitcnt vmcnt(0)
	v_add_f64 v[42:43], v[10:11], -v[42:43]
	s_clause 0x1
	buffer_load_dword v10, off, s[60:63], 0 offset:708
	buffer_load_dword v11, off, s[60:63], 0 offset:712
	s_waitcnt vmcnt(0)
	v_add_f64 v[14:15], v[10:11], v[14:15]
	s_clause 0x1
	buffer_load_dword v10, off, s[60:63], 0 offset:844
	buffer_load_dword v11, off, s[60:63], 0 offset:848
	v_add_f64 v[42:43], v[42:43], v[14:15]
	v_mul_f64 v[14:15], v[233:234], s[30:31]
	s_waitcnt vmcnt(0)
	v_add_f64 v[54:55], v[54:55], v[10:11]
	s_clause 0x1
	buffer_load_dword v10, off, s[60:63], 0 offset:532
	buffer_load_dword v11, off, s[60:63], 0 offset:536
	v_add_f64 v[12:13], v[54:55], v[12:13]
	v_fma_f64 v[54:55], v[233:234], s[24:25], v[80:81]
	s_waitcnt vmcnt(0)
	v_add_f64 v[56:57], v[10:11], -v[56:57]
	s_clause 0x1
	buffer_load_dword v10, off, s[60:63], 0 offset:524
	buffer_load_dword v11, off, s[60:63], 0 offset:528
	v_add_f64 v[40:41], v[56:57], v[40:41]
	s_waitcnt vmcnt(0)
	v_add_f64 v[68:69], v[68:69], v[10:11]
	s_clause 0x1
	buffer_load_dword v10, off, s[60:63], 0 offset:412
	buffer_load_dword v11, off, s[60:63], 0 offset:416
	v_add_f64 v[68:69], v[68:69], v[4:5]
	s_waitcnt vmcnt(0)
	v_add_f64 v[70:71], v[10:11], -v[70:71]
	s_clause 0x1
	buffer_load_dword v10, off, s[60:63], 0 offset:668
	buffer_load_dword v11, off, s[60:63], 0 offset:672
	v_add_f64 v[66:67], v[70:71], v[0:1]
	v_mul_f64 v[0:1], v[233:234], s[36:37]
	s_waitcnt vmcnt(0)
	v_add_f64 v[72:73], v[72:73], v[10:11]
	s_clause 0x1
	buffer_load_dword v10, off, s[60:63], 0 offset:852
	buffer_load_dword v11, off, s[60:63], 0 offset:856
	v_add_f64 v[48:49], v[72:73], v[48:49]
	s_waitcnt vmcnt(0)
	v_add_f64 v[74:75], v[10:11], -v[74:75]
	s_clause 0x1
	buffer_load_dword v10, off, s[60:63], 0 offset:628
	buffer_load_dword v11, off, s[60:63], 0 offset:632
	v_add_f64 v[38:39], v[74:75], v[38:39]
	s_waitcnt vmcnt(0)
	v_add_f64 v[76:77], v[76:77], v[10:11]
	s_clause 0x1
	buffer_load_dword v10, off, s[60:63], 0 offset:652
	buffer_load_dword v11, off, s[60:63], 0 offset:656
	v_add_f64 v[52:53], v[76:77], v[52:53]
	v_mul_f64 v[76:77], v[241:242], s[46:47]
	v_fma_f64 v[124:125], v[213:214], s[18:19], -v[76:77]
	v_fma_f64 v[34:35], v[213:214], s[18:19], v[76:77]
	s_waitcnt vmcnt(0)
	v_add_f64 v[78:79], v[10:11], -v[78:79]
	s_clause 0x1
	buffer_load_dword v10, off, s[60:63], 0 offset:700
	buffer_load_dword v11, off, s[60:63], 0 offset:704
	v_add_f64 v[60:61], v[78:79], v[60:61]
	s_waitcnt vmcnt(0)
	v_add_f64 v[116:117], v[116:117], v[10:11]
	s_clause 0x1
	buffer_load_dword v10, off, s[60:63], 0 offset:804
	buffer_load_dword v11, off, s[60:63], 0 offset:808
	v_add_f64 v[44:45], v[116:117], v[44:45]
	v_mul_f64 v[116:117], v[8:9], s[46:47]
	v_fma_f64 v[76:77], v[233:234], s[18:19], v[116:117]
	v_fma_f64 v[138:139], v[233:234], s[18:19], -v[116:117]
	s_waitcnt vmcnt(0)
	v_add_f64 v[50:51], v[10:11], -v[50:51]
	s_clause 0x1
	buffer_load_dword v10, off, s[60:63], 0 offset:796
	buffer_load_dword v11, off, s[60:63], 0 offset:800
	s_waitcnt vmcnt(0)
	v_add_f64 v[58:59], v[14:15], v[10:11]
	s_clause 0x1
	buffer_load_dword v10, off, s[60:63], 0 offset:516
	buffer_load_dword v11, off, s[60:63], 0 offset:520
	v_mul_f64 v[14:15], v[241:242], s[52:53]
	s_waitcnt vmcnt(0)
	v_add_f64 v[62:63], v[10:11], -v[14:15]
	s_clause 0x1
	buffer_load_dword v10, off, s[60:63], 0 offset:508
	buffer_load_dword v11, off, s[60:63], 0 offset:512
	v_mul_f64 v[14:15], v[233:234], s[10:11]
	v_add_f64 v[110:111], v[62:63], v[40:41]
	s_waitcnt vmcnt(0)
	v_add_f64 v[56:57], v[14:15], v[10:11]
	s_clause 0x1
	buffer_load_dword v10, off, s[60:63], 0 offset:436
	buffer_load_dword v11, off, s[60:63], 0 offset:440
	v_mul_f64 v[14:15], v[241:242], s[38:39]
	v_add_f64 v[108:109], v[56:57], v[68:69]
	s_waitcnt vmcnt(0)
	v_add_f64 v[64:65], v[10:11], -v[14:15]
	s_clause 0x1
	buffer_load_dword v10, off, s[60:63], 0 offset:660
	buffer_load_dword v11, off, s[60:63], 0 offset:664
	v_mul_f64 v[14:15], v[8:9], s[28:29]
	v_add_f64 v[116:117], v[64:65], v[66:67]
	v_fma_f64 v[120:121], v[233:234], s[26:27], v[14:15]
	v_fma_f64 v[134:135], v[233:234], s[26:27], -v[14:15]
	v_add_f64 v[14:15], v[124:125], v[36:37]
	s_waitcnt vmcnt(0)
	v_add_f64 v[70:71], v[0:1], v[10:11]
	s_clause 0x1
	buffer_load_dword v10, off, s[60:63], 0 offset:788
	buffer_load_dword v11, off, s[60:63], 0 offset:792
	v_mul_f64 v[0:1], v[241:242], s[50:51]
	v_add_f64 v[114:115], v[70:71], v[48:49]
	s_waitcnt vmcnt(0)
	v_add_f64 v[118:119], v[10:11], -v[0:1]
	s_clause 0x1
	buffer_load_dword v10, off, s[60:63], 0 offset:764
	buffer_load_dword v11, off, s[60:63], 0 offset:768
	v_mul_f64 v[0:1], v[233:234], s[8:9]
	s_waitcnt vmcnt(0)
	v_add_f64 v[74:75], v[0:1], v[10:11]
	s_clause 0x1
	buffer_load_dword v10, off, s[60:63], 0 offset:636
	buffer_load_dword v11, off, s[60:63], 0 offset:640
	v_mul_f64 v[0:1], v[241:242], s[42:43]
	s_waitcnt vmcnt(0)
	v_add_f64 v[122:123], v[10:11], -v[0:1]
	s_clause 0x1
	buffer_load_dword v10, off, s[60:63], 0 offset:620
	buffer_load_dword v11, off, s[60:63], 0 offset:624
	v_mul_f64 v[0:1], v[233:234], s[40:41]
	s_clause 0x1
	buffer_load_dword v4, off, s[60:63], 0 offset:748
	buffer_load_dword v5, off, s[60:63], 0 offset:752
	v_add_f64 v[124:125], v[122:123], v[60:61]
	s_waitcnt vmcnt(2)
	v_add_f64 v[78:79], v[0:1], v[10:11]
	v_mul_f64 v[0:1], v[241:242], s[28:29]
	s_waitcnt vmcnt(0)
	v_fma_f64 v[4:5], v[213:214], s[24:25], -v[4:5]
	v_add_f64 v[122:123], v[78:79], v[44:45]
	v_fma_f64 v[72:73], v[213:214], s[26:27], -v[0:1]
	v_fma_f64 v[132:133], v[213:214], s[26:27], v[0:1]
	s_clause 0x3
	buffer_load_dword v0, off, s[60:63], 0 offset:756
	buffer_load_dword v1, off, s[60:63], 0 offset:760
	;; [unrolled: 1-line block ×4, first 2 shown]
	v_add_f64 v[2:3], v[4:5], v[18:19]
	v_add_f64 v[4:5], v[120:121], v[24:25]
	;; [unrolled: 1-line block ×6, first 2 shown]
	s_waitcnt vmcnt(2)
	v_add_f64 v[46:47], v[0:1], v[6:7]
	s_waitcnt vmcnt(0)
	v_add_f64 v[128:129], v[8:9], v[22:23]
	s_clause 0x1
	buffer_load_dword v8, off, s[60:63], 0 offset:596
	buffer_load_dword v9, off, s[60:63], 0 offset:600
	v_add_f64 v[6:7], v[72:73], v[16:17]
	v_add_f64 v[16:17], v[58:59], v[12:13]
	v_add_f64 v[12:13], v[76:77], v[130:131]
	v_add_f64 v[0:1], v[54:55], v[28:29]
	v_add_f64 v[130:131], v[134:135], v[26:27]
	v_add_f64 v[134:135], v[138:139], v[32:33]
	v_add_f64 v[136:137], v[34:35], v[46:47]
	s_waitcnt vmcnt(0)
	v_add_f64 v[126:127], v[8:9], v[20:21]
	s_clause 0x1
	buffer_load_dword v20, off, s[60:63], 0 offset:12
	buffer_load_dword v21, off, s[60:63], 0 offset:8
	s_waitcnt vmcnt(1)
	v_mul_lo_u16 v20, v20, 17
	v_and_b32_e32 v20, 0xffff, v20
	s_waitcnt vmcnt(0)
	v_lshl_add_u32 v20, v20, 4, v21
	ds_write_b128 v20, v[126:129]
	ds_write_b128 v20, v[122:125] offset:16
	ds_write_b128 v20, v[118:121] offset:32
	;; [unrolled: 1-line block ×8, first 2 shown]
	s_clause 0x3
	buffer_load_dword v0, off, s[60:63], 0 offset:580
	buffer_load_dword v1, off, s[60:63], 0 offset:584
	;; [unrolled: 1-line block ×4, first 2 shown]
	s_waitcnt vmcnt(0)
	ds_write_b128 v20, v[0:3] offset:144
	ds_write_b128 v20, v[130:133] offset:160
	;; [unrolled: 1-line block ×8, first 2 shown]
.LBB0_17:
	s_or_b32 exec_lo, exec_lo, s1
	s_waitcnt lgkmcnt(0)
	s_waitcnt_vscnt null, 0x0
	s_barrier
	buffer_gl0_inv
	ds_read_b128 v[116:119], v204
	ds_read_b128 v[112:115], v204 offset:1632
	ds_read_b128 v[128:131], v204 offset:3536
	;; [unrolled: 1-line block ×11, first 2 shown]
	s_and_saveexec_b32 s1, s0
	s_cbranch_execz .LBB0_19
; %bb.18:
	ds_read_b128 v[192:195], v204 offset:3264
	ds_read_b128 v[196:199], v204 offset:6800
	;; [unrolled: 1-line block ×6, first 2 shown]
	s_waitcnt lgkmcnt(0)
	buffer_store_dword v0, off, s[60:63], 0 offset:20 ; 4-byte Folded Spill
	buffer_store_dword v1, off, s[60:63], 0 offset:24 ; 4-byte Folded Spill
	;; [unrolled: 1-line block ×4, first 2 shown]
.LBB0_19:
	s_or_b32 exec_lo, exec_lo, s1
	s_clause 0xb
	buffer_load_dword v44, off, s[60:63], 0 offset:36
	buffer_load_dword v45, off, s[60:63], 0 offset:40
	;; [unrolled: 1-line block ×12, first 2 shown]
	s_waitcnt lgkmcnt(5)
	v_mul_f64 v[0:1], v[86:87], v[152:153]
	s_waitcnt lgkmcnt(1)
	v_mul_f64 v[2:3], v[90:91], v[156:157]
	v_mul_f64 v[4:5], v[98:99], v[144:145]
	s_waitcnt lgkmcnt(0)
	v_mul_f64 v[6:7], v[102:103], v[148:149]
	v_mul_f64 v[10:11], v[86:87], v[154:155]
	;; [unrolled: 1-line block ×5, first 2 shown]
	s_mov_b32 s2, 0xe8584caa
	s_mov_b32 s3, 0xbfebb67a
	;; [unrolled: 1-line block ×4, first 2 shown]
	v_fma_f64 v[0:1], v[84:85], v[154:155], -v[0:1]
	v_fma_f64 v[2:3], v[88:89], v[158:159], -v[2:3]
	;; [unrolled: 1-line block ×4, first 2 shown]
	v_fma_f64 v[10:11], v[84:85], v[152:153], v[10:11]
	v_fma_f64 v[12:13], v[88:89], v[156:157], v[12:13]
	;; [unrolled: 1-line block ×4, first 2 shown]
	v_add_f64 v[32:33], v[0:1], v[2:3]
	v_add_f64 v[42:43], v[4:5], v[6:7]
	v_add_f64 v[64:65], v[4:5], -v[6:7]
	s_waitcnt vmcnt(8)
	v_mul_f64 v[8:9], v[46:47], v[128:129]
	s_waitcnt vmcnt(4)
	v_mul_f64 v[14:15], v[56:57], v[120:121]
	;; [unrolled: 2-line block ×3, first 2 shown]
	v_mul_f64 v[22:23], v[50:51], v[136:137]
	s_clause 0x3
	buffer_load_dword v50, off, s[60:63], 0 offset:68
	buffer_load_dword v51, off, s[60:63], 0 offset:72
	;; [unrolled: 1-line block ×4, first 2 shown]
	v_mul_f64 v[30:31], v[56:57], v[122:123]
	s_clause 0x7
	buffer_load_dword v60, off, s[60:63], 0 offset:212
	buffer_load_dword v61, off, s[60:63], 0 offset:216
	;; [unrolled: 1-line block ×8, first 2 shown]
	v_mul_f64 v[28:29], v[46:47], v[130:131]
	v_add_f64 v[46:47], v[10:11], -v[12:13]
	s_waitcnt vmcnt(0)
	s_waitcnt_vscnt null, 0x0
	s_barrier
	buffer_gl0_inv
	v_fma_f64 v[8:9], v[44:45], v[130:131], -v[8:9]
	v_fma_f64 v[14:15], v[54:55], v[122:123], -v[14:15]
	v_fma_f64 v[20:21], v[48:49], v[136:137], v[20:21]
	v_fma_f64 v[22:23], v[48:49], v[138:139], -v[22:23]
	v_add_f64 v[48:49], v[16:17], v[18:19]
	v_fma_f64 v[30:31], v[54:55], v[120:121], v[30:31]
	v_fma_f64 v[28:29], v[44:45], v[128:129], v[28:29]
	v_add_f64 v[44:45], v[10:11], v[12:13]
	v_fma_f64 v[32:33], v[32:33], -0.5, v[8:9]
	v_fma_f64 v[42:43], v[42:43], -0.5, v[14:15]
	v_add_f64 v[4:5], v[14:15], v[4:5]
	v_fma_f64 v[48:49], v[48:49], -0.5, v[30:31]
	v_add_f64 v[10:11], v[28:29], v[10:11]
	;; [unrolled: 2-line block ×3, first 2 shown]
	v_mul_f64 v[24:25], v[52:53], v[142:143]
	v_mul_f64 v[26:27], v[52:53], v[140:141]
	;; [unrolled: 1-line block ×6, first 2 shown]
	v_add_f64 v[52:53], v[116:117], v[20:21]
	v_add_f64 v[58:59], v[118:119], v[22:23]
	v_fma_f64 v[62:63], v[46:47], s[8:9], v[32:33]
	v_fma_f64 v[32:33], v[46:47], s[2:3], v[32:33]
	;; [unrolled: 1-line block ×3, first 2 shown]
	v_fma_f64 v[26:27], v[50:51], v[142:143], -v[26:27]
	v_fma_f64 v[34:35], v[60:61], v[124:125], v[34:35]
	v_fma_f64 v[36:37], v[60:61], v[126:127], -v[36:37]
	v_fma_f64 v[38:39], v[56:57], v[132:133], v[38:39]
	v_fma_f64 v[40:41], v[56:57], v[134:135], -v[40:41]
	v_add_f64 v[50:51], v[16:17], -v[18:19]
	v_add_f64 v[60:61], v[0:1], -v[2:3]
	v_add_f64 v[0:1], v[8:9], v[0:1]
	v_add_f64 v[16:17], v[30:31], v[16:17]
	;; [unrolled: 1-line block ×3, first 2 shown]
	v_add_f64 v[56:57], v[22:23], -v[26:27]
	v_add_f64 v[22:23], v[22:23], v[26:27]
	v_add_f64 v[20:21], v[20:21], -v[24:25]
	v_add_f64 v[14:15], v[52:53], v[24:25]
	v_add_f64 v[46:47], v[36:37], v[40:41]
	v_fma_f64 v[8:9], v[50:51], s[8:9], v[42:43]
	v_fma_f64 v[42:43], v[50:51], s[2:3], v[42:43]
	v_add_f64 v[50:51], v[112:113], v[34:35]
	v_add_f64 v[66:67], v[36:37], -v[40:41]
	v_add_f64 v[36:37], v[114:115], v[36:37]
	v_add_f64 v[26:27], v[58:59], v[26:27]
	v_fma_f64 v[30:31], v[60:61], s[2:3], v[44:45]
	v_fma_f64 v[44:45], v[60:61], s[8:9], v[44:45]
	v_mul_f64 v[52:53], v[62:63], s[2:3]
	v_mul_f64 v[58:59], v[62:63], 0.5
	v_add_f64 v[28:29], v[34:35], v[38:39]
	v_add_f64 v[34:35], v[34:35], -v[38:39]
	v_add_f64 v[12:13], v[0:1], v[2:3]
	v_add_f64 v[16:17], v[16:17], v[18:19]
	v_add_f64 v[18:19], v[4:5], v[6:7]
	v_fma_f64 v[60:61], v[64:65], s[2:3], v[48:49]
	v_fma_f64 v[24:25], v[54:55], -0.5, v[116:117]
	v_mul_f64 v[54:55], v[32:33], s[2:3]
	v_fma_f64 v[22:23], v[22:23], -0.5, v[118:119]
	v_mul_f64 v[32:33], v[32:33], -0.5
	v_add_f64 v[0:1], v[14:15], v[10:11]
	v_add_f64 v[4:5], v[14:15], -v[10:11]
	v_mul_f64 v[62:63], v[8:9], s[2:3]
	v_mul_f64 v[8:9], v[8:9], 0.5
	v_add_f64 v[38:39], v[50:51], v[38:39]
	v_fma_f64 v[46:47], v[46:47], -0.5, v[114:115]
	v_add_f64 v[36:37], v[36:37], v[40:41]
	v_fma_f64 v[48:49], v[64:65], s[8:9], v[48:49]
	v_mul_f64 v[64:65], v[42:43], s[2:3]
	v_mul_f64 v[42:43], v[42:43], -0.5
	v_fma_f64 v[28:29], v[28:29], -0.5, v[112:113]
	v_add_f64 v[2:3], v[26:27], v[12:13]
	v_add_f64 v[6:7], v[26:27], -v[12:13]
	v_fma_f64 v[40:41], v[56:57], s[2:3], v[24:25]
	v_fma_f64 v[50:51], v[56:57], s[8:9], v[24:25]
	;; [unrolled: 1-line block ×4, first 2 shown]
	v_fma_f64 v[24:25], v[30:31], 0.5, v[52:53]
	v_fma_f64 v[30:31], v[30:31], s[8:9], v[58:59]
	v_fma_f64 v[32:33], v[44:45], s[8:9], v[32:33]
	v_fma_f64 v[52:53], v[44:45], -0.5, v[54:55]
	v_fma_f64 v[72:73], v[60:61], s[8:9], v[8:9]
	v_add_f64 v[8:9], v[38:39], v[16:17]
	v_add_f64 v[10:11], v[36:37], v[18:19]
	v_add_f64 v[14:15], v[36:37], -v[18:19]
	v_add_f64 v[12:13], v[38:39], -v[16:17]
	v_fma_f64 v[70:71], v[48:49], -0.5, v[64:65]
	v_fma_f64 v[42:43], v[48:49], s[8:9], v[42:43]
	v_fma_f64 v[44:45], v[66:67], s[2:3], v[28:29]
	;; [unrolled: 1-line block ×5, first 2 shown]
	v_fma_f64 v[46:47], v[60:61], 0.5, v[62:63]
	v_add_f64 v[16:17], v[40:41], v[24:25]
	v_add_f64 v[18:19], v[56:57], v[30:31]
	;; [unrolled: 1-line block ×3, first 2 shown]
	v_add_f64 v[26:27], v[56:57], -v[30:31]
	v_add_f64 v[30:31], v[68:69], -v[32:33]
	buffer_load_dword v32, off, s[60:63], 0 offset:292 ; 4-byte Folded Reload
	v_add_f64 v[20:21], v[50:51], v[52:53]
	v_add_f64 v[24:25], v[40:41], -v[24:25]
	v_add_f64 v[28:29], v[50:51], -v[52:53]
	s_waitcnt vmcnt(0)
	ds_write_b128 v32, v[0:3]
	ds_write_b128 v32, v[4:7] offset:816
	ds_write_b128 v32, v[16:19] offset:272
	;; [unrolled: 1-line block ×5, first 2 shown]
	buffer_load_dword v0, off, s[60:63], 0 offset:284 ; 4-byte Folded Reload
	v_add_f64 v[56:57], v[44:45], v[46:47]
	v_add_f64 v[58:59], v[66:67], v[72:73]
	;; [unrolled: 1-line block ×4, first 2 shown]
	v_add_f64 v[64:65], v[44:45], -v[46:47]
	v_add_f64 v[66:67], v[66:67], -v[72:73]
	;; [unrolled: 1-line block ×4, first 2 shown]
	s_waitcnt vmcnt(0)
	ds_write_b128 v0, v[8:11]
	ds_write_b128 v0, v[56:59] offset:272
	ds_write_b128 v0, v[60:63] offset:544
	;; [unrolled: 1-line block ×5, first 2 shown]
	s_and_saveexec_b32 s1, s0
	s_cbranch_execz .LBB0_21
; %bb.20:
	s_clause 0xb
	buffer_load_dword v16, off, s[60:63], 0 offset:380
	buffer_load_dword v17, off, s[60:63], 0 offset:384
	;; [unrolled: 1-line block ×12, first 2 shown]
	s_waitcnt vmcnt(8)
	v_mul_f64 v[0:1], v[18:19], v[184:185]
	s_waitcnt vmcnt(2)
	v_mul_f64 v[2:3], v[22:23], v[34:35]
	;; [unrolled: 2-line block ×3, first 2 shown]
	s_clause 0xb
	buffer_load_dword v22, off, s[60:63], 0 offset:364
	buffer_load_dword v23, off, s[60:63], 0 offset:368
	;; [unrolled: 1-line block ×12, first 2 shown]
	v_mul_f64 v[4:5], v[18:19], v[186:187]
	v_fma_f64 v[0:1], v[16:17], v[186:187], -v[0:1]
	v_fma_f64 v[2:3], v[20:21], v[36:37], -v[2:3]
	v_fma_f64 v[6:7], v[20:21], v[34:35], v[6:7]
	v_fma_f64 v[4:5], v[16:17], v[184:185], v[4:5]
	v_add_f64 v[16:17], v[0:1], v[2:3]
	s_waitcnt vmcnt(8)
	v_mul_f64 v[8:9], v[24:25], v[196:197]
	s_waitcnt vmcnt(4)
	v_mul_f64 v[10:11], v[28:29], v[188:189]
	;; [unrolled: 2-line block ×3, first 2 shown]
	v_mul_f64 v[14:15], v[24:25], v[198:199]
	v_mul_f64 v[18:19], v[28:29], v[190:191]
	v_mul_f64 v[20:21], v[32:33], v[106:107]
	v_add_f64 v[24:25], v[4:5], -v[6:7]
	v_add_f64 v[28:29], v[0:1], -v[2:3]
	v_fma_f64 v[8:9], v[22:23], v[198:199], -v[8:9]
	v_fma_f64 v[10:11], v[26:27], v[190:191], -v[10:11]
	;; [unrolled: 1-line block ×3, first 2 shown]
	v_fma_f64 v[14:15], v[22:23], v[196:197], v[14:15]
	v_add_f64 v[22:23], v[4:5], v[6:7]
	v_fma_f64 v[18:19], v[26:27], v[188:189], v[18:19]
	v_fma_f64 v[20:21], v[30:31], v[104:105], v[20:21]
	v_fma_f64 v[16:17], v[16:17], -0.5, v[8:9]
	v_add_f64 v[34:35], v[194:195], v[10:11]
	v_add_f64 v[26:27], v[10:11], v[12:13]
	;; [unrolled: 1-line block ×3, first 2 shown]
	v_fma_f64 v[22:23], v[22:23], -0.5, v[14:15]
	v_add_f64 v[8:9], v[10:11], -v[12:13]
	v_add_f64 v[32:33], v[18:19], -v[20:21]
	v_add_f64 v[10:11], v[192:193], v[18:19]
	v_add_f64 v[4:5], v[14:15], v[4:5]
	v_fma_f64 v[30:31], v[24:25], s[2:3], v[16:17]
	v_fma_f64 v[16:17], v[24:25], s[8:9], v[16:17]
	v_add_f64 v[24:25], v[18:19], v[20:21]
	v_fma_f64 v[14:15], v[26:27], -0.5, v[194:195]
	v_fma_f64 v[18:19], v[28:29], s[8:9], v[22:23]
	v_fma_f64 v[22:23], v[28:29], s[2:3], v[22:23]
	v_add_f64 v[12:13], v[34:35], v[12:13]
	v_add_f64 v[34:35], v[0:1], v[2:3]
	;; [unrolled: 1-line block ×4, first 2 shown]
	v_mul_f64 v[26:27], v[30:31], -0.5
	v_mul_f64 v[28:29], v[16:17], 0.5
	v_fma_f64 v[24:25], v[24:25], -0.5, v[192:193]
	v_mul_f64 v[16:17], v[16:17], s[2:3]
	v_mul_f64 v[30:31], v[30:31], s[2:3]
	v_fma_f64 v[20:21], v[32:33], s[2:3], v[14:15]
	v_fma_f64 v[32:33], v[32:33], s[8:9], v[14:15]
	v_add_f64 v[2:3], v[12:13], -v[34:35]
	v_add_f64 v[6:7], v[12:13], v[34:35]
	v_add_f64 v[0:1], v[10:11], -v[4:5]
	v_add_f64 v[4:5], v[10:11], v[4:5]
	v_fma_f64 v[26:27], v[18:19], s[8:9], v[26:27]
	v_fma_f64 v[28:29], v[22:23], s[8:9], v[28:29]
	;; [unrolled: 1-line block ×4, first 2 shown]
	v_fma_f64 v[24:25], v[22:23], 0.5, v[16:17]
	v_fma_f64 v[30:31], v[18:19], -0.5, v[30:31]
	v_add_f64 v[10:11], v[20:21], -v[26:27]
	v_add_f64 v[18:19], v[20:21], v[26:27]
	v_add_f64 v[22:23], v[32:33], v[28:29]
	v_add_f64 v[14:15], v[32:33], -v[28:29]
	v_add_f64 v[20:21], v[8:9], v[24:25]
	v_add_f64 v[12:13], v[8:9], -v[24:25]
	s_clause 0x1
	buffer_load_dword v24, off, s[60:63], 0 offset:8
	buffer_load_dword v25, off, s[60:63], 0 offset:276
	v_add_f64 v[16:17], v[36:37], v[30:31]
	v_add_f64 v[8:9], v[36:37], -v[30:31]
	s_waitcnt vmcnt(0)
	v_lshl_add_u32 v24, v25, 4, v24
	ds_write_b128 v24, v[4:7] offset:19584
	ds_write_b128 v24, v[0:3] offset:20400
	;; [unrolled: 1-line block ×6, first 2 shown]
.LBB0_21:
	s_or_b32 exec_lo, exec_lo, s1
	s_waitcnt lgkmcnt(0)
	s_barrier
	buffer_gl0_inv
	ds_read_b128 v[4:7], v204 offset:1632
	ds_read_b128 v[0:3], v204
	ds_read_b128 v[8:11], v204 offset:3264
	ds_read_b128 v[12:15], v204 offset:4896
	;; [unrolled: 1-line block ×11, first 2 shown]
	s_clause 0x1b
	buffer_load_dword v44, off, s[60:63], 0 offset:228
	buffer_load_dword v45, off, s[60:63], 0 offset:232
	;; [unrolled: 1-line block ×28, first 2 shown]
	s_waitcnt lgkmcnt(12)
	v_mul_f64 v[34:35], v[94:95], v[4:5]
	v_mul_f64 v[32:33], v[94:95], v[6:7]
	s_clause 0x3
	buffer_load_dword v110, off, s[60:63], 0 offset:116
	buffer_load_dword v111, off, s[60:63], 0 offset:120
	;; [unrolled: 1-line block ×4, first 2 shown]
	s_mov_b32 s2, 0x4267c47c
	s_mov_b32 s20, 0x66966769
	;; [unrolled: 1-line block ×19, first 2 shown]
	v_fma_f64 v[6:7], v[92:93], v[6:7], -v[34:35]
	v_fma_f64 v[32:33], v[92:93], v[4:5], v[32:33]
	s_mov_b32 s29, 0xbfd6b1d8
	s_mov_b32 s31, 0xbfe5384d
	;; [unrolled: 1-line block ×17, first 2 shown]
	s_waitcnt vmcnt(28) lgkmcnt(10)
	v_mul_f64 v[36:37], v[46:47], v[10:11]
	v_mul_f64 v[38:39], v[46:47], v[8:9]
	s_waitcnt vmcnt(20) lgkmcnt(9)
	v_mul_f64 v[34:35], v[124:125], v[14:15]
	v_mul_f64 v[40:41], v[124:125], v[12:13]
	s_clause 0xb
	buffer_load_dword v124, off, s[60:63], 0 offset:244
	buffer_load_dword v125, off, s[60:63], 0 offset:248
	;; [unrolled: 1-line block ×12, first 2 shown]
	s_waitcnt lgkmcnt(0)
	v_mul_f64 v[42:43], v[104:105], v[90:91]
	s_waitcnt vmcnt(20)
	v_mul_f64 v[52:53], v[116:117], v[22:23]
	v_mul_f64 v[50:51], v[120:121], v[16:17]
	s_waitcnt vmcnt(16)
	v_mul_f64 v[54:55], v[130:131], v[66:67]
	v_mul_f64 v[68:69], v[130:131], v[64:65]
	;; [unrolled: 1-line block ×4, first 2 shown]
	s_waitcnt vmcnt(12)
	v_mul_f64 v[72:73], v[112:113], v[26:27]
	v_mul_f64 v[78:79], v[112:113], v[24:25]
	;; [unrolled: 1-line block ×4, first 2 shown]
	v_fma_f64 v[36:37], v[44:45], v[8:9], v[36:37]
	v_add_f64 v[8:9], v[0:1], v[32:33]
	v_fma_f64 v[38:39], v[44:45], v[10:11], -v[38:39]
	v_add_f64 v[10:11], v[2:3], v[6:7]
	v_mul_f64 v[44:45], v[120:121], v[18:19]
	v_fma_f64 v[12:13], v[122:123], v[12:13], v[34:35]
	v_fma_f64 v[14:15], v[122:123], v[14:15], -v[40:41]
	v_fma_f64 v[34:35], v[102:103], v[88:89], v[42:43]
	v_fma_f64 v[20:21], v[114:115], v[20:21], v[52:53]
	v_fma_f64 v[18:19], v[118:119], v[18:19], -v[50:51]
	v_fma_f64 v[50:51], v[128:129], v[66:67], -v[68:69]
	;; [unrolled: 1-line block ×4, first 2 shown]
	v_fma_f64 v[4:5], v[110:111], v[24:25], v[72:73]
	v_fma_f64 v[46:47], v[80:81], v[84:85], v[46:47]
	v_fma_f64 v[48:49], v[80:81], v[86:87], -v[48:49]
	v_add_f64 v[40:41], v[8:9], v[36:37]
	v_fma_f64 v[8:9], v[110:111], v[26:27], -v[78:79]
	v_add_f64 v[42:43], v[10:11], v[38:39]
	v_fma_f64 v[16:17], v[118:119], v[16:17], v[44:45]
	v_fma_f64 v[44:45], v[128:129], v[64:65], v[54:55]
	v_add_f64 v[64:65], v[14:15], v[50:51]
	v_add_f64 v[24:25], v[6:7], -v[90:91]
	v_add_f64 v[26:27], v[6:7], v[90:91]
	v_add_f64 v[40:41], v[40:41], v[12:13]
	;; [unrolled: 1-line block ×3, first 2 shown]
	v_add_f64 v[14:15], v[14:15], -v[50:51]
	v_mul_f64 v[114:115], v[64:65], s[22:23]
	v_mul_f64 v[118:119], v[64:65], s[42:43]
	;; [unrolled: 1-line block ×13, first 2 shown]
	s_waitcnt vmcnt(8)
	v_mul_f64 v[74:75], v[126:127], v[62:63]
	v_mul_f64 v[76:77], v[126:127], v[60:61]
	s_waitcnt vmcnt(4)
	v_mul_f64 v[82:83], v[108:109], v[30:31]
	v_mul_f64 v[92:93], v[108:109], v[28:29]
	;; [unrolled: 3-line block ×3, first 2 shown]
	v_mul_f64 v[126:127], v[64:65], s[8:9]
	v_mul_f64 v[64:65], v[64:65], s[38:39]
	v_fma_f64 v[52:53], v[124:125], v[60:61], v[74:75]
	v_fma_f64 v[54:55], v[124:125], v[62:63], -v[76:77]
	v_fma_f64 v[6:7], v[106:107], v[28:29], v[82:83]
	v_fma_f64 v[10:11], v[106:107], v[30:31], -v[92:93]
	;; [unrolled: 2-line block ×3, first 2 shown]
	v_add_f64 v[56:57], v[32:33], v[34:35]
	v_add_f64 v[60:61], v[38:39], v[48:49]
	v_add_f64 v[38:39], v[38:39], -v[48:49]
	v_mul_f64 v[74:75], v[24:25], s[2:3]
	v_mul_f64 v[82:83], v[24:25], s[20:21]
	v_add_f64 v[32:33], v[32:33], -v[34:35]
	v_mul_f64 v[76:77], v[26:27], s[8:9]
	v_add_f64 v[58:59], v[36:37], v[46:47]
	v_add_f64 v[36:37], v[36:37], -v[46:47]
	v_add_f64 v[62:63], v[12:13], v[44:45]
	v_add_f64 v[12:13], v[12:13], -v[44:45]
	v_mul_f64 v[124:125], v[14:15], s[0:1]
	v_mul_f64 v[14:15], v[14:15], s[30:31]
	v_add_f64 v[66:67], v[16:17], v[52:53]
	v_add_f64 v[70:71], v[16:17], -v[52:53]
	v_add_f64 v[16:17], v[40:41], v[16:17]
	v_add_f64 v[68:69], v[18:19], v[54:55]
	v_add_f64 v[72:73], v[18:19], -v[54:55]
	v_add_f64 v[18:19], v[42:43], v[18:19]
	v_mul_f64 v[40:41], v[26:27], s[28:29]
	v_mul_f64 v[42:43], v[24:25], s[30:31]
	;; [unrolled: 1-line block ×6, first 2 shown]
	v_fma_f64 v[138:139], v[56:57], s[8:9], v[74:75]
	v_fma_f64 v[146:147], v[56:57], s[22:23], v[82:83]
	v_fma_f64 v[82:83], v[56:57], s[22:23], -v[82:83]
	v_mul_f64 v[94:95], v[60:61], s[18:19]
	v_mul_f64 v[96:97], v[38:39], s[26:27]
	;; [unrolled: 1-line block ×9, first 2 shown]
	v_add_f64 v[16:17], v[16:17], v[20:21]
	v_mul_f64 v[60:61], v[60:61], s[8:9]
	v_fma_f64 v[140:141], v[32:33], s[0:1], v[76:77]
	v_add_f64 v[18:19], v[18:19], v[22:23]
	v_fma_f64 v[74:75], v[56:57], s[8:9], -v[74:75]
	v_fma_f64 v[76:77], v[32:33], s[2:3], v[76:77]
	v_fma_f64 v[142:143], v[56:57], s[18:19], v[78:79]
	;; [unrolled: 1-line block ×3, first 2 shown]
	v_fma_f64 v[78:79], v[56:57], s[18:19], -v[78:79]
	v_fma_f64 v[80:81], v[32:33], s[16:17], v[80:81]
	v_fma_f64 v[148:149], v[32:33], s[24:25], v[84:85]
	;; [unrolled: 1-line block ×5, first 2 shown]
	v_fma_f64 v[86:87], v[56:57], s[28:29], -v[86:87]
	v_fma_f64 v[154:155], v[56:57], s[38:39], v[42:43]
	v_fma_f64 v[156:157], v[32:33], s[40:41], v[88:89]
	v_fma_f64 v[42:43], v[56:57], s[38:39], -v[42:43]
	v_fma_f64 v[88:89], v[32:33], s[30:31], v[88:89]
	v_fma_f64 v[158:159], v[56:57], s[42:43], v[24:25]
	;; [unrolled: 1-line block ×3, first 2 shown]
	v_fma_f64 v[24:25], v[56:57], s[42:43], -v[24:25]
	v_add_f64 v[16:17], v[16:17], v[4:5]
	v_fma_f64 v[40:41], v[32:33], s[26:27], v[40:41]
	v_fma_f64 v[26:27], v[32:33], s[36:37], v[26:27]
	v_add_f64 v[18:19], v[18:19], v[8:9]
	v_fma_f64 v[32:33], v[58:59], s[18:19], v[92:93]
	v_fma_f64 v[166:167], v[58:59], s[42:43], v[100:101]
	v_fma_f64 v[100:101], v[58:59], s[42:43], -v[100:101]
	v_add_f64 v[138:139], v[0:1], v[138:139]
	v_add_f64 v[82:83], v[0:1], v[82:83]
	v_fma_f64 v[56:57], v[36:37], s[10:11], v[94:95]
	v_fma_f64 v[92:93], v[58:59], s[18:19], -v[92:93]
	v_fma_f64 v[94:95], v[36:37], s[16:17], v[94:95]
	v_fma_f64 v[162:163], v[58:59], s[28:29], v[96:97]
	;; [unrolled: 1-line block ×3, first 2 shown]
	v_fma_f64 v[96:97], v[58:59], s[28:29], -v[96:97]
	v_fma_f64 v[98:99], v[36:37], s[26:27], v[98:99]
	v_fma_f64 v[168:169], v[36:37], s[44:45], v[102:103]
	;; [unrolled: 1-line block ×7, first 2 shown]
	v_add_f64 v[16:17], v[16:17], v[6:7]
	v_fma_f64 v[38:39], v[58:59], s[8:9], -v[38:39]
	v_add_f64 v[140:141], v[2:3], v[140:141]
	v_add_f64 v[18:19], v[18:19], v[10:11]
	;; [unrolled: 1-line block ×16, first 2 shown]
	v_mul_f64 v[132:133], v[72:73], s[26:27]
	v_fma_f64 v[104:105], v[58:59], s[38:39], -v[104:105]
	v_fma_f64 v[106:107], v[36:37], s[40:41], v[106:107]
	v_fma_f64 v[174:175], v[58:59], s[22:23], v[108:109]
	v_add_f64 v[16:17], v[16:17], v[28:29]
	v_fma_f64 v[176:177], v[36:37], s[20:21], v[110:111]
	v_fma_f64 v[108:109], v[58:59], s[22:23], -v[108:109]
	v_add_f64 v[18:19], v[18:19], v[30:31]
	v_fma_f64 v[110:111], v[36:37], s[24:25], v[110:111]
	v_fma_f64 v[36:37], v[36:37], s[0:1], v[60:61]
	;; [unrolled: 1-line block ×4, first 2 shown]
	v_fma_f64 v[120:121], v[62:63], s[28:29], -v[120:121]
	v_add_f64 v[40:41], v[2:3], v[40:41]
	v_add_f64 v[156:157], v[2:3], v[156:157]
	;; [unrolled: 1-line block ×3, first 2 shown]
	v_mul_f64 v[134:135], v[68:69], s[28:29]
	v_mul_f64 v[136:137], v[72:73], s[40:41]
	v_fma_f64 v[60:61], v[12:13], s[24:25], v[114:115]
	v_fma_f64 v[112:113], v[62:63], s[22:23], -v[112:113]
	v_fma_f64 v[114:115], v[12:13], s[20:21], v[114:115]
	v_fma_f64 v[182:183], v[62:63], s[42:43], v[116:117]
	;; [unrolled: 1-line block ×3, first 2 shown]
	v_fma_f64 v[116:117], v[62:63], s[42:43], -v[116:117]
	v_fma_f64 v[118:119], v[12:13], s[36:37], v[118:119]
	v_fma_f64 v[188:189], v[12:13], s[26:27], v[122:123]
	v_add_f64 v[16:17], v[16:17], v[52:53]
	v_fma_f64 v[122:123], v[12:13], s[34:35], v[122:123]
	v_fma_f64 v[190:191], v[62:63], s[8:9], v[124:125]
	v_add_f64 v[18:19], v[18:19], v[54:55]
	v_fma_f64 v[192:193], v[12:13], s[2:3], v[126:127]
	v_fma_f64 v[52:53], v[62:63], s[38:39], v[14:15]
	;; [unrolled: 1-line block ×3, first 2 shown]
	v_add_f64 v[78:79], v[96:97], v[78:79]
	v_add_f64 v[80:81], v[98:99], v[80:81]
	;; [unrolled: 1-line block ×5, first 2 shown]
	v_fma_f64 v[14:15], v[62:63], s[38:39], -v[14:15]
	v_fma_f64 v[124:125], v[62:63], s[8:9], -v[124:125]
	v_fma_f64 v[126:127], v[12:13], s[0:1], v[126:127]
	v_fma_f64 v[194:195], v[62:63], s[18:19], v[128:129]
	;; [unrolled: 1-line block ×3, first 2 shown]
	v_fma_f64 v[128:129], v[62:63], s[18:19], -v[128:129]
	v_fma_f64 v[130:131], v[12:13], s[16:17], v[130:131]
	v_mul_f64 v[62:63], v[68:69], s[38:39]
	v_fma_f64 v[12:13], v[12:13], s[30:31], v[64:65]
	v_add_f64 v[42:43], v[108:109], v[42:43]
	v_add_f64 v[16:17], v[16:17], v[44:45]
	;; [unrolled: 1-line block ×17, first 2 shown]
	v_mul_f64 v[98:99], v[68:69], s[22:23]
	v_add_f64 v[102:103], v[20:21], v[28:29]
	v_add_f64 v[20:21], v[20:21], -v[28:29]
	v_fma_f64 v[100:101], v[70:71], s[30:31], v[62:63]
	v_fma_f64 v[62:63], v[70:71], s[40:41], v[62:63]
	v_add_f64 v[42:43], v[128:129], v[42:43]
	v_add_f64 v[16:17], v[16:17], v[46:47]
	;; [unrolled: 1-line block ×18, first 2 shown]
	v_fma_f64 v[92:93], v[70:71], s[26:27], v[134:135]
	v_mul_f64 v[94:95], v[72:73], s[0:1]
	v_add_f64 v[86:87], v[176:177], v[156:157]
	v_add_f64 v[44:45], v[110:111], v[44:45]
	;; [unrolled: 1-line block ×5, first 2 shown]
	v_fma_f64 v[82:83], v[66:67], s[28:29], v[132:133]
	v_add_f64 v[2:3], v[18:19], v[90:91]
	v_add_f64 v[18:19], v[122:123], v[84:85]
	;; [unrolled: 1-line block ×3, first 2 shown]
	v_fma_f64 v[84:85], v[70:71], s[34:35], v[134:135]
	v_fma_f64 v[90:91], v[66:67], s[28:29], -v[132:133]
	v_mul_f64 v[96:97], v[68:69], s[8:9]
	v_add_f64 v[50:51], v[52:53], v[50:51]
	v_add_f64 v[52:53], v[54:55], v[88:89]
	v_fma_f64 v[54:55], v[66:67], s[38:39], v[136:137]
	v_mul_f64 v[88:89], v[72:73], s[20:21]
	v_add_f64 v[14:15], v[14:15], v[38:39]
	v_add_f64 v[38:39], v[22:23], -v[30:31]
	v_add_f64 v[22:23], v[22:23], v[30:31]
	v_add_f64 v[12:13], v[12:13], v[36:37]
	v_mul_f64 v[30:31], v[72:73], s[44:45]
	v_fma_f64 v[36:37], v[66:67], s[38:39], -v[136:137]
	v_mul_f64 v[72:73], v[72:73], s[10:11]
	v_add_f64 v[56:57], v[92:93], v[56:57]
	v_fma_f64 v[92:93], v[66:67], s[8:9], -v[94:95]
	v_add_f64 v[46:47], v[124:125], v[46:47]
	v_add_f64 v[86:87], v[196:197], v[86:87]
	;; [unrolled: 1-line block ×3, first 2 shown]
	v_mul_f64 v[82:83], v[68:69], s[42:43]
	v_mul_f64 v[68:69], v[68:69], s[18:19]
	v_add_f64 v[44:45], v[130:131], v[44:45]
	v_add_f64 v[26:27], v[84:85], v[26:27]
	;; [unrolled: 1-line block ×3, first 2 shown]
	v_fma_f64 v[84:85], v[66:67], s[8:9], v[94:95]
	v_fma_f64 v[90:91], v[70:71], s[2:3], v[96:97]
	;; [unrolled: 1-line block ×3, first 2 shown]
	v_add_f64 v[54:55], v[54:55], v[58:59]
	v_fma_f64 v[58:59], v[66:67], s[22:23], v[88:89]
	v_fma_f64 v[96:97], v[70:71], s[24:25], v[98:99]
	v_mul_f64 v[104:105], v[38:39], s[30:31]
	v_mul_f64 v[28:29], v[22:23], s[38:39]
	v_fma_f64 v[88:89], v[66:67], s[22:23], -v[88:89]
	v_add_f64 v[60:61], v[100:101], v[60:61]
	v_fma_f64 v[100:101], v[66:67], s[42:43], v[30:31]
	v_add_f64 v[36:37], v[36:37], v[74:75]
	v_add_f64 v[62:63], v[62:63], v[76:77]
	v_fma_f64 v[30:31], v[66:67], s[42:43], -v[30:31]
	v_add_f64 v[48:49], v[174:175], v[154:155]
	v_fma_f64 v[98:99], v[70:71], s[20:21], v[98:99]
	v_add_f64 v[16:17], v[92:93], v[16:17]
	v_fma_f64 v[74:75], v[70:71], s[36:37], v[82:83]
	v_fma_f64 v[76:77], v[70:71], s[44:45], v[82:83]
	v_fma_f64 v[82:83], v[66:67], s[18:19], v[72:73]
	v_fma_f64 v[66:67], v[66:67], s[18:19], -v[72:73]
	v_mul_f64 v[72:73], v[22:23], s[22:23]
	v_add_f64 v[78:79], v[84:85], v[78:79]
	v_fma_f64 v[84:85], v[70:71], s[16:17], v[68:69]
	v_fma_f64 v[68:69], v[70:71], s[10:11], v[68:69]
	v_mul_f64 v[70:71], v[38:39], s[24:25]
	v_add_f64 v[34:35], v[58:59], v[34:35]
	v_add_f64 v[58:59], v[96:97], v[64:65]
	v_fma_f64 v[64:65], v[102:103], s[38:39], v[104:105]
	v_add_f64 v[80:81], v[90:91], v[80:81]
	v_fma_f64 v[90:91], v[20:21], s[40:41], v[28:29]
	v_add_f64 v[46:47], v[88:89], v[46:47]
	v_mul_f64 v[88:89], v[38:39], s[16:17]
	v_mul_f64 v[92:93], v[22:23], s[18:19]
	v_fma_f64 v[28:29], v[20:21], s[30:31], v[28:29]
	v_add_f64 v[30:31], v[30:31], v[42:43]
	v_add_f64 v[40:41], v[126:127], v[40:41]
	;; [unrolled: 1-line block ×6, first 2 shown]
	v_fma_f64 v[44:45], v[102:103], s[38:39], -v[104:105]
	v_mul_f64 v[76:77], v[38:39], s[44:45]
	v_mul_f64 v[86:87], v[22:23], s[42:43]
	v_add_f64 v[14:15], v[66:67], v[14:15]
	v_add_f64 v[66:67], v[8:9], -v[10:11]
	v_add_f64 v[8:9], v[8:9], v[10:11]
	v_add_f64 v[12:13], v[68:69], v[12:13]
	v_fma_f64 v[68:69], v[102:103], s[22:23], -v[70:71]
	v_add_f64 v[50:51], v[82:83], v[50:51]
	v_add_f64 v[10:11], v[64:65], v[24:25]
	v_fma_f64 v[24:25], v[102:103], s[22:23], v[70:71]
	v_fma_f64 v[64:65], v[20:21], s[20:21], v[72:73]
	;; [unrolled: 1-line block ×3, first 2 shown]
	v_mul_f64 v[72:73], v[38:39], s[0:1]
	v_add_f64 v[26:27], v[90:91], v[26:27]
	v_mul_f64 v[90:91], v[22:23], s[8:9]
	v_fma_f64 v[82:83], v[102:103], s[18:19], v[88:89]
	v_fma_f64 v[88:89], v[102:103], s[18:19], -v[88:89]
	v_add_f64 v[52:53], v[84:85], v[52:53]
	v_fma_f64 v[84:85], v[20:21], s[10:11], v[92:93]
	v_add_f64 v[56:57], v[28:29], v[56:57]
	v_mul_f64 v[28:29], v[38:39], s[26:27]
	v_add_f64 v[32:33], v[44:45], v[32:33]
	v_fma_f64 v[44:45], v[102:103], s[42:43], v[76:77]
	v_fma_f64 v[94:95], v[20:21], s[36:37], v[86:87]
	v_mul_f64 v[22:23], v[22:23], s[28:29]
	v_add_f64 v[40:41], v[98:99], v[40:41]
	v_add_f64 v[48:49], v[100:101], v[48:49]
	;; [unrolled: 1-line block ×3, first 2 shown]
	v_add_f64 v[96:97], v[4:5], -v[6:7]
	v_mul_f64 v[98:99], v[66:67], s[36:37]
	v_mul_f64 v[100:101], v[8:9], s[42:43]
	v_fma_f64 v[6:7], v[20:21], s[44:45], v[86:87]
	v_add_f64 v[24:25], v[24:25], v[54:55]
	v_add_f64 v[54:55], v[64:65], v[60:61]
	;; [unrolled: 1-line block ×3, first 2 shown]
	v_fma_f64 v[62:63], v[102:103], s[8:9], v[72:73]
	v_fma_f64 v[92:93], v[20:21], s[16:17], v[92:93]
	;; [unrolled: 1-line block ×3, first 2 shown]
	v_fma_f64 v[4:5], v[102:103], s[42:43], -v[76:77]
	v_add_f64 v[76:77], v[88:89], v[16:17]
	v_fma_f64 v[16:17], v[102:103], s[8:9], -v[72:73]
	v_add_f64 v[36:37], v[68:69], v[36:37]
	v_add_f64 v[64:65], v[82:83], v[78:79]
	;; [unrolled: 1-line block ×5, first 2 shown]
	v_fma_f64 v[58:59], v[20:21], s[0:1], v[90:91]
	v_fma_f64 v[72:73], v[102:103], s[28:29], v[28:29]
	;; [unrolled: 1-line block ×3, first 2 shown]
	v_fma_f64 v[28:29], v[102:103], s[28:29], -v[28:29]
	v_fma_f64 v[20:21], v[20:21], s[26:27], v[22:23]
	v_mul_f64 v[82:83], v[66:67], s[0:1]
	v_mul_f64 v[84:85], v[8:9], s[8:9]
	v_fma_f64 v[22:23], v[38:39], s[42:43], v[98:99]
	v_fma_f64 v[80:81], v[96:97], s[44:45], v[100:101]
	v_add_f64 v[86:87], v[6:7], v[40:41]
	v_mul_f64 v[40:41], v[66:67], s[30:31]
	v_mul_f64 v[88:89], v[8:9], s[38:39]
	v_add_f64 v[48:49], v[62:63], v[48:49]
	v_mul_f64 v[62:63], v[66:67], s[10:11]
	v_mul_f64 v[90:91], v[8:9], s[18:19]
	v_add_f64 v[18:19], v[92:93], v[18:19]
	v_add_f64 v[70:71], v[70:71], v[74:75]
	v_mul_f64 v[74:75], v[66:67], s[26:27]
	v_mul_f64 v[92:93], v[8:9], s[28:29]
	v_add_f64 v[94:95], v[16:17], v[30:31]
	v_mul_f64 v[16:17], v[66:67], s[24:25]
	v_mul_f64 v[8:9], v[8:9], s[22:23]
	v_add_f64 v[42:43], v[58:59], v[42:43]
	v_add_f64 v[46:47], v[4:5], v[46:47]
	;; [unrolled: 1-line block ×5, first 2 shown]
	v_fma_f64 v[12:13], v[38:39], s[8:9], v[82:83]
	v_fma_f64 v[14:15], v[96:97], s[2:3], v[84:85]
	v_add_f64 v[4:5], v[22:23], v[10:11]
	v_add_f64 v[6:7], v[80:81], v[26:27]
	v_fma_f64 v[20:21], v[38:39], s[8:9], -v[82:83]
	v_fma_f64 v[22:23], v[38:39], s[38:39], v[40:41]
	v_fma_f64 v[26:27], v[96:97], s[40:41], v[88:89]
	v_fma_f64 v[28:29], v[38:39], s[38:39], -v[40:41]
	v_fma_f64 v[30:31], v[38:39], s[18:19], v[62:63]
	v_fma_f64 v[40:41], v[96:97], s[16:17], v[90:91]
	v_add_f64 v[52:53], v[78:79], v[52:53]
	v_fma_f64 v[10:11], v[38:39], s[42:43], -v[98:99]
	v_fma_f64 v[72:73], v[38:39], s[28:29], v[74:75]
	v_fma_f64 v[78:79], v[96:97], s[34:35], v[92:93]
	v_fma_f64 v[62:63], v[38:39], s[18:19], -v[62:63]
	v_fma_f64 v[80:81], v[38:39], s[22:23], v[16:17]
	v_fma_f64 v[82:83], v[96:97], s[20:21], v[8:9]
	v_fma_f64 v[98:99], v[38:39], s[22:23], -v[16:17]
	v_fma_f64 v[102:103], v[96:97], s[24:25], v[8:9]
	v_fma_f64 v[74:75], v[38:39], s[28:29], -v[74:75]
	v_fma_f64 v[92:93], v[96:97], s[26:27], v[92:93]
	v_fma_f64 v[90:91], v[96:97], s[10:11], v[90:91]
	;; [unrolled: 1-line block ×5, first 2 shown]
	v_add_f64 v[12:13], v[12:13], v[24:25]
	v_add_f64 v[14:15], v[14:15], v[54:55]
	;; [unrolled: 1-line block ×22, first 2 shown]
	ds_write_b128 v255, v[0:3]
	ds_write_b128 v255, v[4:7] offset:1632
	ds_write_b128 v255, v[12:15] offset:3264
	;; [unrolled: 1-line block ×12, first 2 shown]
	s_waitcnt lgkmcnt(0)
	s_barrier
	buffer_gl0_inv
	s_and_b32 exec_lo, exec_lo, vcc_lo
	s_cbranch_execz .LBB0_23
; %bb.22:
	buffer_load_dword v17, off, s[60:63], 0 offset:12 ; 4-byte Folded Reload
	s_mov_b32 s0, 0x18b64019
	s_mov_b32 s1, 0x3f48b640
	s_mul_i32 s3, s4, 0x4e0
	s_waitcnt vmcnt(0)
	v_lshlrev_b32_e32 v18, 4, v17
	global_load_dwordx4 v[0:3], v18, s[12:13]
	ds_read_b128 v[4:7], v255
	ds_read_b128 v[8:11], v255 offset:1248
	s_clause 0x1
	buffer_load_dword v14, off, s[60:63], 0
	buffer_load_dword v15, off, s[60:63], 0 offset:4
	s_waitcnt vmcnt(2) lgkmcnt(1)
	v_mul_f64 v[12:13], v[6:7], v[2:3]
	v_mul_f64 v[2:3], v[4:5], v[2:3]
	s_waitcnt vmcnt(1)
	v_mov_b32_e32 v16, v14
	s_waitcnt vmcnt(0)
	v_mad_u64_u32 v[14:15], null, s6, v16, 0
	v_fma_f64 v[4:5], v[4:5], v[0:1], v[12:13]
	v_fma_f64 v[2:3], v[0:1], v[6:7], -v[2:3]
	v_mad_u64_u32 v[6:7], null, s4, v17, 0
	v_mov_b32_e32 v0, v15
	v_mov_b32_e32 v1, v7
	v_mad_u64_u32 v[12:13], null, s7, v16, v[0:1]
	v_mov_b32_e32 v15, v12
	v_mad_u64_u32 v[16:17], null, s5, v17, v[1:2]
	v_mul_f64 v[0:1], v[4:5], s[0:1]
	v_mul_f64 v[2:3], v[2:3], s[0:1]
	v_lshlrev_b64 v[4:5], 4, v[14:15]
	v_mov_b32_e32 v7, v16
	v_add_co_u32 v4, vcc_lo, s14, v4
	v_add_co_ci_u32_e32 v5, vcc_lo, s15, v5, vcc_lo
	v_lshlrev_b64 v[6:7], 4, v[6:7]
	v_add_co_u32 v6, vcc_lo, v4, v6
	v_add_co_ci_u32_e32 v7, vcc_lo, v5, v7, vcc_lo
	v_add_co_u32 v14, vcc_lo, v6, s3
	global_store_dwordx4 v[6:7], v[0:3], off
	global_load_dwordx4 v[0:3], v18, s[12:13] offset:1248
	s_waitcnt vmcnt(0) lgkmcnt(0)
	v_mul_f64 v[4:5], v[10:11], v[2:3]
	v_mul_f64 v[2:3], v[8:9], v[2:3]
	v_fma_f64 v[4:5], v[8:9], v[0:1], v[4:5]
	v_fma_f64 v[0:1], v[0:1], v[10:11], -v[2:3]
	v_mul_f64 v[2:3], v[4:5], s[0:1]
	v_mul_f64 v[4:5], v[0:1], s[0:1]
	v_add_co_u32 v0, s2, s12, v18
	v_add_co_ci_u32_e64 v1, null, s13, 0, s2
	s_mul_i32 s2, s5, 0x4e0
	s_mul_hi_u32 s5, s4, 0x4e0
	s_add_i32 s2, s5, s2
	v_add_co_ci_u32_e32 v15, vcc_lo, s2, v7, vcc_lo
	v_add_co_u32 v16, vcc_lo, 0x800, v0
	v_add_co_ci_u32_e32 v17, vcc_lo, 0, v1, vcc_lo
	global_store_dwordx4 v[14:15], v[2:5], off
	global_load_dwordx4 v[2:5], v[16:17], off offset:448
	ds_read_b128 v[6:9], v255 offset:2496
	ds_read_b128 v[10:13], v255 offset:3744
	s_waitcnt vmcnt(0) lgkmcnt(1)
	v_mul_f64 v[18:19], v[8:9], v[4:5]
	v_mul_f64 v[4:5], v[6:7], v[4:5]
	v_fma_f64 v[6:7], v[6:7], v[2:3], v[18:19]
	v_fma_f64 v[4:5], v[2:3], v[8:9], -v[4:5]
	v_mul_f64 v[2:3], v[6:7], s[0:1]
	v_mul_f64 v[4:5], v[4:5], s[0:1]
	v_add_co_u32 v6, vcc_lo, v14, s3
	v_add_co_ci_u32_e32 v7, vcc_lo, s2, v15, vcc_lo
	v_add_co_u32 v14, vcc_lo, v6, s3
	v_add_co_ci_u32_e32 v15, vcc_lo, s2, v7, vcc_lo
	global_store_dwordx4 v[6:7], v[2:5], off
	global_load_dwordx4 v[2:5], v[16:17], off offset:1696
	v_add_co_u32 v6, vcc_lo, 0x1000, v0
	v_add_co_ci_u32_e32 v7, vcc_lo, 0, v1, vcc_lo
	s_waitcnt vmcnt(0) lgkmcnt(0)
	v_mul_f64 v[8:9], v[12:13], v[4:5]
	v_mul_f64 v[4:5], v[10:11], v[4:5]
	v_fma_f64 v[8:9], v[10:11], v[2:3], v[8:9]
	v_fma_f64 v[4:5], v[2:3], v[12:13], -v[4:5]
	v_mul_f64 v[2:3], v[8:9], s[0:1]
	v_mul_f64 v[4:5], v[4:5], s[0:1]
	global_store_dwordx4 v[14:15], v[2:5], off
	global_load_dwordx4 v[2:5], v[6:7], off offset:896
	ds_read_b128 v[6:9], v255 offset:4992
	ds_read_b128 v[10:13], v255 offset:6240
	s_waitcnt vmcnt(0) lgkmcnt(1)
	v_mul_f64 v[16:17], v[8:9], v[4:5]
	v_mul_f64 v[4:5], v[6:7], v[4:5]
	v_fma_f64 v[6:7], v[6:7], v[2:3], v[16:17]
	v_fma_f64 v[4:5], v[2:3], v[8:9], -v[4:5]
	v_mul_f64 v[2:3], v[6:7], s[0:1]
	v_mul_f64 v[4:5], v[4:5], s[0:1]
	v_add_co_u32 v6, vcc_lo, v14, s3
	v_add_co_ci_u32_e32 v7, vcc_lo, s2, v15, vcc_lo
	v_add_co_u32 v8, vcc_lo, 0x1800, v0
	v_add_co_ci_u32_e32 v9, vcc_lo, 0, v1, vcc_lo
	global_store_dwordx4 v[6:7], v[2:5], off
	global_load_dwordx4 v[2:5], v[8:9], off offset:96
	s_waitcnt vmcnt(0) lgkmcnt(0)
	v_mul_f64 v[14:15], v[12:13], v[4:5]
	v_mul_f64 v[4:5], v[10:11], v[4:5]
	v_fma_f64 v[10:11], v[10:11], v[2:3], v[14:15]
	v_fma_f64 v[4:5], v[2:3], v[12:13], -v[4:5]
	v_add_co_u32 v14, vcc_lo, v6, s3
	v_add_co_ci_u32_e32 v15, vcc_lo, s2, v7, vcc_lo
	v_mul_f64 v[2:3], v[10:11], s[0:1]
	v_mul_f64 v[4:5], v[4:5], s[0:1]
	global_store_dwordx4 v[14:15], v[2:5], off
	global_load_dwordx4 v[2:5], v[8:9], off offset:1344
	ds_read_b128 v[6:9], v255 offset:7488
	ds_read_b128 v[10:13], v255 offset:8736
	s_waitcnt vmcnt(0) lgkmcnt(1)
	v_mul_f64 v[16:17], v[8:9], v[4:5]
	v_mul_f64 v[4:5], v[6:7], v[4:5]
	v_fma_f64 v[6:7], v[6:7], v[2:3], v[16:17]
	v_fma_f64 v[4:5], v[2:3], v[8:9], -v[4:5]
	v_mul_f64 v[2:3], v[6:7], s[0:1]
	v_mul_f64 v[4:5], v[4:5], s[0:1]
	v_add_co_u32 v6, vcc_lo, v14, s3
	v_add_co_ci_u32_e32 v7, vcc_lo, s2, v15, vcc_lo
	v_add_co_u32 v8, vcc_lo, 0x2000, v0
	v_add_co_ci_u32_e32 v9, vcc_lo, 0, v1, vcc_lo
	global_store_dwordx4 v[6:7], v[2:5], off
	global_load_dwordx4 v[2:5], v[8:9], off offset:544
	s_waitcnt vmcnt(0) lgkmcnt(0)
	v_mul_f64 v[14:15], v[12:13], v[4:5]
	v_mul_f64 v[4:5], v[10:11], v[4:5]
	v_fma_f64 v[10:11], v[10:11], v[2:3], v[14:15]
	v_fma_f64 v[4:5], v[2:3], v[12:13], -v[4:5]
	v_add_co_u32 v14, vcc_lo, v6, s3
	v_add_co_ci_u32_e32 v15, vcc_lo, s2, v7, vcc_lo
	v_mul_f64 v[2:3], v[10:11], s[0:1]
	v_mul_f64 v[4:5], v[4:5], s[0:1]
	global_store_dwordx4 v[14:15], v[2:5], off
	global_load_dwordx4 v[2:5], v[8:9], off offset:1792
	ds_read_b128 v[6:9], v255 offset:9984
	ds_read_b128 v[10:13], v255 offset:11232
	s_waitcnt vmcnt(0) lgkmcnt(1)
	v_mul_f64 v[16:17], v[8:9], v[4:5]
	v_mul_f64 v[4:5], v[6:7], v[4:5]
	v_fma_f64 v[6:7], v[6:7], v[2:3], v[16:17]
	v_fma_f64 v[4:5], v[2:3], v[8:9], -v[4:5]
	v_mul_f64 v[2:3], v[6:7], s[0:1]
	v_mul_f64 v[4:5], v[4:5], s[0:1]
	v_add_co_u32 v6, vcc_lo, v14, s3
	v_add_co_ci_u32_e32 v7, vcc_lo, s2, v15, vcc_lo
	v_add_co_u32 v8, vcc_lo, 0x2800, v0
	v_add_co_ci_u32_e32 v9, vcc_lo, 0, v1, vcc_lo
	;; [unrolled: 2-line block ×4, first 2 shown]
	global_store_dwordx4 v[6:7], v[2:5], off
	global_load_dwordx4 v[2:5], v[8:9], off offset:992
	s_waitcnt vmcnt(0) lgkmcnt(0)
	v_mul_f64 v[8:9], v[12:13], v[4:5]
	v_mul_f64 v[4:5], v[10:11], v[4:5]
	v_fma_f64 v[8:9], v[10:11], v[2:3], v[8:9]
	v_fma_f64 v[4:5], v[2:3], v[12:13], -v[4:5]
	v_mul_f64 v[2:3], v[8:9], s[0:1]
	v_mul_f64 v[4:5], v[4:5], s[0:1]
	global_store_dwordx4 v[14:15], v[2:5], off
	global_load_dwordx4 v[2:5], v[16:17], off offset:192
	ds_read_b128 v[6:9], v255 offset:12480
	ds_read_b128 v[10:13], v255 offset:13728
	s_waitcnt vmcnt(0) lgkmcnt(1)
	v_mul_f64 v[18:19], v[8:9], v[4:5]
	v_mul_f64 v[4:5], v[6:7], v[4:5]
	v_fma_f64 v[6:7], v[6:7], v[2:3], v[18:19]
	v_fma_f64 v[4:5], v[2:3], v[8:9], -v[4:5]
	v_mul_f64 v[2:3], v[6:7], s[0:1]
	v_mul_f64 v[4:5], v[4:5], s[0:1]
	v_add_co_u32 v6, vcc_lo, v14, s3
	v_add_co_ci_u32_e32 v7, vcc_lo, s2, v15, vcc_lo
	v_add_co_u32 v14, vcc_lo, v6, s3
	v_add_co_ci_u32_e32 v15, vcc_lo, s2, v7, vcc_lo
	global_store_dwordx4 v[6:7], v[2:5], off
	global_load_dwordx4 v[2:5], v[16:17], off offset:1440
	v_add_co_u32 v16, vcc_lo, 0x3800, v0
	v_add_co_ci_u32_e32 v17, vcc_lo, 0, v1, vcc_lo
	s_waitcnt vmcnt(0) lgkmcnt(0)
	v_mul_f64 v[8:9], v[12:13], v[4:5]
	v_mul_f64 v[4:5], v[10:11], v[4:5]
	v_fma_f64 v[8:9], v[10:11], v[2:3], v[8:9]
	v_fma_f64 v[4:5], v[2:3], v[12:13], -v[4:5]
	v_mul_f64 v[2:3], v[8:9], s[0:1]
	v_mul_f64 v[4:5], v[4:5], s[0:1]
	global_store_dwordx4 v[14:15], v[2:5], off
	global_load_dwordx4 v[2:5], v[16:17], off offset:640
	ds_read_b128 v[6:9], v255 offset:14976
	ds_read_b128 v[10:13], v255 offset:16224
	s_waitcnt vmcnt(0) lgkmcnt(1)
	v_mul_f64 v[18:19], v[8:9], v[4:5]
	v_mul_f64 v[4:5], v[6:7], v[4:5]
	v_fma_f64 v[6:7], v[6:7], v[2:3], v[18:19]
	v_fma_f64 v[4:5], v[2:3], v[8:9], -v[4:5]
	v_mul_f64 v[2:3], v[6:7], s[0:1]
	v_mul_f64 v[4:5], v[4:5], s[0:1]
	v_add_co_u32 v6, vcc_lo, v14, s3
	v_add_co_ci_u32_e32 v7, vcc_lo, s2, v15, vcc_lo
	v_add_co_u32 v14, vcc_lo, v6, s3
	v_add_co_ci_u32_e32 v15, vcc_lo, s2, v7, vcc_lo
	global_store_dwordx4 v[6:7], v[2:5], off
	global_load_dwordx4 v[2:5], v[16:17], off offset:1888
	v_add_co_u32 v6, vcc_lo, 0x4000, v0
	v_add_co_ci_u32_e32 v7, vcc_lo, 0, v1, vcc_lo
	s_waitcnt vmcnt(0) lgkmcnt(0)
	v_mul_f64 v[8:9], v[12:13], v[4:5]
	v_mul_f64 v[4:5], v[10:11], v[4:5]
	v_fma_f64 v[8:9], v[10:11], v[2:3], v[8:9]
	v_fma_f64 v[4:5], v[2:3], v[12:13], -v[4:5]
	v_mul_f64 v[2:3], v[8:9], s[0:1]
	v_mul_f64 v[4:5], v[4:5], s[0:1]
	global_store_dwordx4 v[14:15], v[2:5], off
	global_load_dwordx4 v[2:5], v[6:7], off offset:1088
	ds_read_b128 v[6:9], v255 offset:17472
	ds_read_b128 v[10:13], v255 offset:18720
	s_waitcnt vmcnt(0) lgkmcnt(1)
	v_mul_f64 v[16:17], v[8:9], v[4:5]
	v_mul_f64 v[4:5], v[6:7], v[4:5]
	v_fma_f64 v[6:7], v[6:7], v[2:3], v[16:17]
	v_fma_f64 v[4:5], v[2:3], v[8:9], -v[4:5]
	v_mul_f64 v[2:3], v[6:7], s[0:1]
	v_mul_f64 v[4:5], v[4:5], s[0:1]
	v_add_co_u32 v6, vcc_lo, v14, s3
	v_add_co_ci_u32_e32 v7, vcc_lo, s2, v15, vcc_lo
	v_add_co_u32 v8, vcc_lo, 0x4800, v0
	v_add_co_ci_u32_e32 v9, vcc_lo, 0, v1, vcc_lo
	global_store_dwordx4 v[6:7], v[2:5], off
	global_load_dwordx4 v[0:3], v[8:9], off offset:288
	s_waitcnt vmcnt(0) lgkmcnt(0)
	v_mul_f64 v[4:5], v[12:13], v[2:3]
	v_mul_f64 v[2:3], v[10:11], v[2:3]
	v_fma_f64 v[4:5], v[10:11], v[0:1], v[4:5]
	v_fma_f64 v[2:3], v[0:1], v[12:13], -v[2:3]
	v_add_co_u32 v10, vcc_lo, v6, s3
	v_add_co_ci_u32_e32 v11, vcc_lo, s2, v7, vcc_lo
	v_mul_f64 v[0:1], v[4:5], s[0:1]
	v_mul_f64 v[2:3], v[2:3], s[0:1]
	ds_read_b128 v[4:7], v255 offset:19968
	global_store_dwordx4 v[10:11], v[0:3], off
	global_load_dwordx4 v[0:3], v[8:9], off offset:1536
	s_waitcnt vmcnt(0) lgkmcnt(0)
	v_mul_f64 v[8:9], v[6:7], v[2:3]
	v_mul_f64 v[2:3], v[4:5], v[2:3]
	v_fma_f64 v[4:5], v[4:5], v[0:1], v[8:9]
	v_fma_f64 v[2:3], v[0:1], v[6:7], -v[2:3]
	v_mul_f64 v[0:1], v[4:5], s[0:1]
	v_mul_f64 v[2:3], v[2:3], s[0:1]
	v_add_co_u32 v4, vcc_lo, v10, s3
	v_add_co_ci_u32_e32 v5, vcc_lo, s2, v11, vcc_lo
	global_store_dwordx4 v[4:5], v[0:3], off
.LBB0_23:
	s_endpgm
	.section	.rodata,"a",@progbits
	.p2align	6, 0x0
	.amdhsa_kernel bluestein_single_fwd_len1326_dim1_dp_op_CI_CI
		.amdhsa_group_segment_fixed_size 42432
		.amdhsa_private_segment_fixed_size 872
		.amdhsa_kernarg_size 104
		.amdhsa_user_sgpr_count 6
		.amdhsa_user_sgpr_private_segment_buffer 1
		.amdhsa_user_sgpr_dispatch_ptr 0
		.amdhsa_user_sgpr_queue_ptr 0
		.amdhsa_user_sgpr_kernarg_segment_ptr 1
		.amdhsa_user_sgpr_dispatch_id 0
		.amdhsa_user_sgpr_flat_scratch_init 0
		.amdhsa_user_sgpr_private_segment_size 0
		.amdhsa_wavefront_size32 1
		.amdhsa_uses_dynamic_stack 0
		.amdhsa_system_sgpr_private_segment_wavefront_offset 1
		.amdhsa_system_sgpr_workgroup_id_x 1
		.amdhsa_system_sgpr_workgroup_id_y 0
		.amdhsa_system_sgpr_workgroup_id_z 0
		.amdhsa_system_sgpr_workgroup_info 0
		.amdhsa_system_vgpr_workitem_id 0
		.amdhsa_next_free_vgpr 256
		.amdhsa_next_free_sgpr 64
		.amdhsa_reserve_vcc 1
		.amdhsa_reserve_flat_scratch 0
		.amdhsa_float_round_mode_32 0
		.amdhsa_float_round_mode_16_64 0
		.amdhsa_float_denorm_mode_32 3
		.amdhsa_float_denorm_mode_16_64 3
		.amdhsa_dx10_clamp 1
		.amdhsa_ieee_mode 1
		.amdhsa_fp16_overflow 0
		.amdhsa_workgroup_processor_mode 1
		.amdhsa_memory_ordered 1
		.amdhsa_forward_progress 0
		.amdhsa_shared_vgpr_count 0
		.amdhsa_exception_fp_ieee_invalid_op 0
		.amdhsa_exception_fp_denorm_src 0
		.amdhsa_exception_fp_ieee_div_zero 0
		.amdhsa_exception_fp_ieee_overflow 0
		.amdhsa_exception_fp_ieee_underflow 0
		.amdhsa_exception_fp_ieee_inexact 0
		.amdhsa_exception_int_div_zero 0
	.end_amdhsa_kernel
	.text
.Lfunc_end0:
	.size	bluestein_single_fwd_len1326_dim1_dp_op_CI_CI, .Lfunc_end0-bluestein_single_fwd_len1326_dim1_dp_op_CI_CI
                                        ; -- End function
	.section	.AMDGPU.csdata,"",@progbits
; Kernel info:
; codeLenInByte = 37876
; NumSgprs: 66
; NumVgprs: 256
; ScratchSize: 872
; MemoryBound: 0
; FloatMode: 240
; IeeeMode: 1
; LDSByteSize: 42432 bytes/workgroup (compile time only)
; SGPRBlocks: 8
; VGPRBlocks: 31
; NumSGPRsForWavesPerEU: 66
; NumVGPRsForWavesPerEU: 256
; Occupancy: 4
; WaveLimiterHint : 1
; COMPUTE_PGM_RSRC2:SCRATCH_EN: 1
; COMPUTE_PGM_RSRC2:USER_SGPR: 6
; COMPUTE_PGM_RSRC2:TRAP_HANDLER: 0
; COMPUTE_PGM_RSRC2:TGID_X_EN: 1
; COMPUTE_PGM_RSRC2:TGID_Y_EN: 0
; COMPUTE_PGM_RSRC2:TGID_Z_EN: 0
; COMPUTE_PGM_RSRC2:TIDIG_COMP_CNT: 0
	.text
	.p2alignl 6, 3214868480
	.fill 48, 4, 3214868480
	.type	__hip_cuid_e096843411a42625,@object ; @__hip_cuid_e096843411a42625
	.section	.bss,"aw",@nobits
	.globl	__hip_cuid_e096843411a42625
__hip_cuid_e096843411a42625:
	.byte	0                               ; 0x0
	.size	__hip_cuid_e096843411a42625, 1

	.ident	"AMD clang version 19.0.0git (https://github.com/RadeonOpenCompute/llvm-project roc-6.4.0 25133 c7fe45cf4b819c5991fe208aaa96edf142730f1d)"
	.section	".note.GNU-stack","",@progbits
	.addrsig
	.addrsig_sym __hip_cuid_e096843411a42625
	.amdgpu_metadata
---
amdhsa.kernels:
  - .args:
      - .actual_access:  read_only
        .address_space:  global
        .offset:         0
        .size:           8
        .value_kind:     global_buffer
      - .actual_access:  read_only
        .address_space:  global
        .offset:         8
        .size:           8
        .value_kind:     global_buffer
      - .actual_access:  read_only
        .address_space:  global
        .offset:         16
        .size:           8
        .value_kind:     global_buffer
      - .actual_access:  read_only
        .address_space:  global
        .offset:         24
        .size:           8
        .value_kind:     global_buffer
      - .actual_access:  read_only
        .address_space:  global
        .offset:         32
        .size:           8
        .value_kind:     global_buffer
      - .offset:         40
        .size:           8
        .value_kind:     by_value
      - .address_space:  global
        .offset:         48
        .size:           8
        .value_kind:     global_buffer
      - .address_space:  global
        .offset:         56
        .size:           8
        .value_kind:     global_buffer
      - .address_space:  global
        .offset:         64
        .size:           8
        .value_kind:     global_buffer
      - .address_space:  global
        .offset:         72
        .size:           8
        .value_kind:     global_buffer
      - .offset:         80
        .size:           4
        .value_kind:     by_value
      - .address_space:  global
        .offset:         88
        .size:           8
        .value_kind:     global_buffer
      - .address_space:  global
        .offset:         96
        .size:           8
        .value_kind:     global_buffer
    .group_segment_fixed_size: 42432
    .kernarg_segment_align: 8
    .kernarg_segment_size: 104
    .language:       OpenCL C
    .language_version:
      - 2
      - 0
    .max_flat_workgroup_size: 204
    .name:           bluestein_single_fwd_len1326_dim1_dp_op_CI_CI
    .private_segment_fixed_size: 872
    .sgpr_count:     66
    .sgpr_spill_count: 0
    .symbol:         bluestein_single_fwd_len1326_dim1_dp_op_CI_CI.kd
    .uniform_work_group_size: 1
    .uses_dynamic_stack: false
    .vgpr_count:     256
    .vgpr_spill_count: 301
    .wavefront_size: 32
    .workgroup_processor_mode: 1
amdhsa.target:   amdgcn-amd-amdhsa--gfx1030
amdhsa.version:
  - 1
  - 2
...

	.end_amdgpu_metadata
